;; amdgpu-corpus repo=ROCm/rocFFT kind=compiled arch=gfx906 opt=O3
	.text
	.amdgcn_target "amdgcn-amd-amdhsa--gfx906"
	.amdhsa_code_object_version 6
	.protected	fft_rtc_back_len2023_factors_17_7_17_wgs_119_tpt_119_halfLds_sp_op_CI_CI_sbrr_dirReg ; -- Begin function fft_rtc_back_len2023_factors_17_7_17_wgs_119_tpt_119_halfLds_sp_op_CI_CI_sbrr_dirReg
	.globl	fft_rtc_back_len2023_factors_17_7_17_wgs_119_tpt_119_halfLds_sp_op_CI_CI_sbrr_dirReg
	.p2align	8
	.type	fft_rtc_back_len2023_factors_17_7_17_wgs_119_tpt_119_halfLds_sp_op_CI_CI_sbrr_dirReg,@function
fft_rtc_back_len2023_factors_17_7_17_wgs_119_tpt_119_halfLds_sp_op_CI_CI_sbrr_dirReg: ; @fft_rtc_back_len2023_factors_17_7_17_wgs_119_tpt_119_halfLds_sp_op_CI_CI_sbrr_dirReg
; %bb.0:
	s_load_dwordx4 s[16:19], s[4:5], 0x18
	s_load_dwordx4 s[12:15], s[4:5], 0x0
	;; [unrolled: 1-line block ×3, first 2 shown]
	v_mul_u32_u24_e32 v1, 0x227, v0
	v_mov_b32_e32 v5, 0
	s_waitcnt lgkmcnt(0)
	s_load_dwordx2 s[20:21], s[16:17], 0x0
	s_load_dwordx2 s[2:3], s[18:19], 0x0
	v_cmp_lt_u64_e64 s[0:1], s[14:15], 2
	v_mov_b32_e32 v39, 0
	v_add_u32_sdwa v7, s6, v1 dst_sel:DWORD dst_unused:UNUSED_PAD src0_sel:DWORD src1_sel:WORD_1
	v_mov_b32_e32 v8, v5
	s_and_b64 vcc, exec, s[0:1]
	v_mov_b32_e32 v40, 0
	s_cbranch_vccnz .LBB0_8
; %bb.1:
	s_load_dwordx2 s[0:1], s[4:5], 0x10
	s_add_u32 s6, s18, 8
	s_addc_u32 s7, s19, 0
	s_add_u32 s22, s16, 8
	s_addc_u32 s23, s17, 0
	v_mov_b32_e32 v39, 0
	s_waitcnt lgkmcnt(0)
	s_add_u32 s24, s0, 8
	v_mov_b32_e32 v40, 0
	v_mov_b32_e32 v1, v39
	s_addc_u32 s25, s1, 0
	s_mov_b64 s[26:27], 1
	v_mov_b32_e32 v2, v40
.LBB0_2:                                ; =>This Inner Loop Header: Depth=1
	s_load_dwordx2 s[28:29], s[24:25], 0x0
                                        ; implicit-def: $vgpr3_vgpr4
	s_waitcnt lgkmcnt(0)
	v_or_b32_e32 v6, s29, v8
	v_cmp_ne_u64_e32 vcc, 0, v[5:6]
	s_and_saveexec_b64 s[0:1], vcc
	s_xor_b64 s[30:31], exec, s[0:1]
	s_cbranch_execz .LBB0_4
; %bb.3:                                ;   in Loop: Header=BB0_2 Depth=1
	v_cvt_f32_u32_e32 v3, s28
	v_cvt_f32_u32_e32 v4, s29
	s_sub_u32 s0, 0, s28
	s_subb_u32 s1, 0, s29
	v_mac_f32_e32 v3, 0x4f800000, v4
	v_rcp_f32_e32 v3, v3
	v_mul_f32_e32 v3, 0x5f7ffffc, v3
	v_mul_f32_e32 v4, 0x2f800000, v3
	v_trunc_f32_e32 v4, v4
	v_mac_f32_e32 v3, 0xcf800000, v4
	v_cvt_u32_f32_e32 v4, v4
	v_cvt_u32_f32_e32 v3, v3
	v_mul_lo_u32 v6, s0, v4
	v_mul_hi_u32 v9, s0, v3
	v_mul_lo_u32 v11, s1, v3
	v_mul_lo_u32 v10, s0, v3
	v_add_u32_e32 v6, v9, v6
	v_add_u32_e32 v6, v6, v11
	v_mul_hi_u32 v9, v3, v10
	v_mul_lo_u32 v11, v3, v6
	v_mul_hi_u32 v13, v3, v6
	v_mul_hi_u32 v12, v4, v10
	v_mul_lo_u32 v10, v4, v10
	v_mul_hi_u32 v14, v4, v6
	v_add_co_u32_e32 v9, vcc, v9, v11
	v_addc_co_u32_e32 v11, vcc, 0, v13, vcc
	v_mul_lo_u32 v6, v4, v6
	v_add_co_u32_e32 v9, vcc, v9, v10
	v_addc_co_u32_e32 v9, vcc, v11, v12, vcc
	v_addc_co_u32_e32 v10, vcc, 0, v14, vcc
	v_add_co_u32_e32 v6, vcc, v9, v6
	v_addc_co_u32_e32 v9, vcc, 0, v10, vcc
	v_add_co_u32_e32 v3, vcc, v3, v6
	v_addc_co_u32_e32 v4, vcc, v4, v9, vcc
	v_mul_lo_u32 v6, s0, v4
	v_mul_hi_u32 v9, s0, v3
	v_mul_lo_u32 v10, s1, v3
	v_mul_lo_u32 v11, s0, v3
	v_add_u32_e32 v6, v9, v6
	v_add_u32_e32 v6, v6, v10
	v_mul_lo_u32 v12, v3, v6
	v_mul_hi_u32 v13, v3, v11
	v_mul_hi_u32 v14, v3, v6
	;; [unrolled: 1-line block ×3, first 2 shown]
	v_mul_lo_u32 v11, v4, v11
	v_mul_hi_u32 v9, v4, v6
	v_add_co_u32_e32 v12, vcc, v13, v12
	v_addc_co_u32_e32 v13, vcc, 0, v14, vcc
	v_mul_lo_u32 v6, v4, v6
	v_add_co_u32_e32 v11, vcc, v12, v11
	v_addc_co_u32_e32 v10, vcc, v13, v10, vcc
	v_addc_co_u32_e32 v9, vcc, 0, v9, vcc
	v_add_co_u32_e32 v6, vcc, v10, v6
	v_addc_co_u32_e32 v9, vcc, 0, v9, vcc
	v_add_co_u32_e32 v6, vcc, v3, v6
	v_addc_co_u32_e32 v9, vcc, v4, v9, vcc
	v_mad_u64_u32 v[3:4], s[0:1], v7, v9, 0
	v_mul_hi_u32 v10, v7, v6
	v_add_co_u32_e32 v11, vcc, v10, v3
	v_addc_co_u32_e32 v12, vcc, 0, v4, vcc
	v_mad_u64_u32 v[3:4], s[0:1], v8, v6, 0
	v_mad_u64_u32 v[9:10], s[0:1], v8, v9, 0
	v_add_co_u32_e32 v3, vcc, v11, v3
	v_addc_co_u32_e32 v3, vcc, v12, v4, vcc
	v_addc_co_u32_e32 v4, vcc, 0, v10, vcc
	v_add_co_u32_e32 v6, vcc, v3, v9
	v_addc_co_u32_e32 v9, vcc, 0, v4, vcc
	v_mul_lo_u32 v10, s29, v6
	v_mul_lo_u32 v11, s28, v9
	v_mad_u64_u32 v[3:4], s[0:1], s28, v6, 0
	v_add3_u32 v4, v4, v11, v10
	v_sub_u32_e32 v10, v8, v4
	v_mov_b32_e32 v11, s29
	v_sub_co_u32_e32 v3, vcc, v7, v3
	v_subb_co_u32_e64 v10, s[0:1], v10, v11, vcc
	v_subrev_co_u32_e64 v11, s[0:1], s28, v3
	v_subbrev_co_u32_e64 v10, s[0:1], 0, v10, s[0:1]
	v_cmp_le_u32_e64 s[0:1], s29, v10
	v_cndmask_b32_e64 v12, 0, -1, s[0:1]
	v_cmp_le_u32_e64 s[0:1], s28, v11
	v_cndmask_b32_e64 v11, 0, -1, s[0:1]
	v_cmp_eq_u32_e64 s[0:1], s29, v10
	v_cndmask_b32_e64 v10, v12, v11, s[0:1]
	v_add_co_u32_e64 v11, s[0:1], 2, v6
	v_addc_co_u32_e64 v12, s[0:1], 0, v9, s[0:1]
	v_add_co_u32_e64 v13, s[0:1], 1, v6
	v_addc_co_u32_e64 v14, s[0:1], 0, v9, s[0:1]
	v_subb_co_u32_e32 v4, vcc, v8, v4, vcc
	v_cmp_ne_u32_e64 s[0:1], 0, v10
	v_cmp_le_u32_e32 vcc, s29, v4
	v_cndmask_b32_e64 v10, v14, v12, s[0:1]
	v_cndmask_b32_e64 v12, 0, -1, vcc
	v_cmp_le_u32_e32 vcc, s28, v3
	v_cndmask_b32_e64 v3, 0, -1, vcc
	v_cmp_eq_u32_e32 vcc, s29, v4
	v_cndmask_b32_e32 v3, v12, v3, vcc
	v_cmp_ne_u32_e32 vcc, 0, v3
	v_cndmask_b32_e64 v3, v13, v11, s[0:1]
	v_cndmask_b32_e32 v4, v9, v10, vcc
	v_cndmask_b32_e32 v3, v6, v3, vcc
.LBB0_4:                                ;   in Loop: Header=BB0_2 Depth=1
	s_andn2_saveexec_b64 s[0:1], s[30:31]
	s_cbranch_execz .LBB0_6
; %bb.5:                                ;   in Loop: Header=BB0_2 Depth=1
	v_cvt_f32_u32_e32 v3, s28
	s_sub_i32 s30, 0, s28
	v_rcp_iflag_f32_e32 v3, v3
	v_mul_f32_e32 v3, 0x4f7ffffe, v3
	v_cvt_u32_f32_e32 v3, v3
	v_mul_lo_u32 v4, s30, v3
	v_mul_hi_u32 v4, v3, v4
	v_add_u32_e32 v3, v3, v4
	v_mul_hi_u32 v3, v7, v3
	v_mul_lo_u32 v4, v3, s28
	v_add_u32_e32 v6, 1, v3
	v_sub_u32_e32 v4, v7, v4
	v_subrev_u32_e32 v9, s28, v4
	v_cmp_le_u32_e32 vcc, s28, v4
	v_cndmask_b32_e32 v4, v4, v9, vcc
	v_cndmask_b32_e32 v3, v3, v6, vcc
	v_add_u32_e32 v6, 1, v3
	v_cmp_le_u32_e32 vcc, s28, v4
	v_cndmask_b32_e32 v3, v3, v6, vcc
	v_mov_b32_e32 v4, v5
.LBB0_6:                                ;   in Loop: Header=BB0_2 Depth=1
	s_or_b64 exec, exec, s[0:1]
	v_mul_lo_u32 v6, v4, s28
	v_mul_lo_u32 v11, v3, s29
	v_mad_u64_u32 v[9:10], s[0:1], v3, s28, 0
	s_load_dwordx2 s[0:1], s[22:23], 0x0
	s_load_dwordx2 s[28:29], s[6:7], 0x0
	v_add3_u32 v6, v10, v11, v6
	v_sub_co_u32_e32 v7, vcc, v7, v9
	v_subb_co_u32_e32 v6, vcc, v8, v6, vcc
	s_waitcnt lgkmcnt(0)
	v_mul_lo_u32 v8, s0, v6
	v_mul_lo_u32 v9, s1, v7
	v_mad_u64_u32 v[39:40], s[0:1], s0, v7, v[39:40]
	v_mul_lo_u32 v6, s28, v6
	v_mul_lo_u32 v10, s29, v7
	v_mad_u64_u32 v[1:2], s[0:1], s28, v7, v[1:2]
	s_add_u32 s26, s26, 1
	s_addc_u32 s27, s27, 0
	s_add_u32 s6, s6, 8
	v_add3_u32 v2, v10, v2, v6
	s_addc_u32 s7, s7, 0
	v_mov_b32_e32 v6, s14
	s_add_u32 s22, s22, 8
	v_mov_b32_e32 v7, s15
	s_addc_u32 s23, s23, 0
	v_cmp_ge_u64_e32 vcc, s[26:27], v[6:7]
	s_add_u32 s24, s24, 8
	v_add3_u32 v40, v9, v40, v8
	s_addc_u32 s25, s25, 0
	s_cbranch_vccnz .LBB0_9
; %bb.7:                                ;   in Loop: Header=BB0_2 Depth=1
	v_mov_b32_e32 v8, v4
	v_mov_b32_e32 v7, v3
	s_branch .LBB0_2
.LBB0_8:
	v_mov_b32_e32 v1, v39
	v_mov_b32_e32 v3, v7
	;; [unrolled: 1-line block ×4, first 2 shown]
.LBB0_9:
	s_load_dwordx2 s[0:1], s[4:5], 0x28
	s_lshl_b64 s[14:15], s[14:15], 3
	s_add_u32 s4, s18, s14
	s_addc_u32 s5, s19, s15
                                        ; implicit-def: $sgpr18_sgpr19
                                        ; implicit-def: $sgpr22
                                        ; implicit-def: $vgpr52
                                        ; implicit-def: $vgpr54
                                        ; implicit-def: $vgpr53
	s_waitcnt lgkmcnt(0)
	v_cmp_gt_u64_e32 vcc, s[0:1], v[3:4]
	v_cmp_le_u64_e64 s[0:1], s[0:1], v[3:4]
	s_and_saveexec_b64 s[6:7], s[0:1]
	s_xor_b64 s[0:1], exec, s[6:7]
; %bb.10:
	s_mov_b32 s6, 0x226b903
	v_mul_hi_u32 v5, v0, s6
	s_mov_b32 s22, 0
	s_mov_b64 s[18:19], 0
                                        ; implicit-def: $vgpr39_vgpr40
	v_mul_u32_u24_e32 v5, 0x77, v5
	v_sub_u32_e32 v52, v0, v5
	v_add_u32_e32 v54, 0x77, v52
	v_add_u32_e32 v53, 0xee, v52
                                        ; implicit-def: $vgpr0
; %bb.11:
	s_or_saveexec_b64 s[6:7], s[0:1]
	v_mov_b32_e32 v30, s19
	v_mov_b32_e32 v51, s22
	;; [unrolled: 1-line block ×3, first 2 shown]
                                        ; implicit-def: $vgpr36
                                        ; implicit-def: $vgpr32
                                        ; implicit-def: $vgpr26
                                        ; implicit-def: $vgpr22
                                        ; implicit-def: $vgpr18
                                        ; implicit-def: $vgpr14
                                        ; implicit-def: $vgpr10
                                        ; implicit-def: $vgpr6
                                        ; implicit-def: $vgpr8
                                        ; implicit-def: $vgpr16
                                        ; implicit-def: $vgpr28
                                        ; implicit-def: $vgpr34
                                        ; implicit-def: $vgpr38
                                        ; implicit-def: $vgpr24
                                        ; implicit-def: $vgpr20
                                        ; implicit-def: $vgpr12
	s_xor_b64 exec, exec, s[6:7]
	s_cbranch_execz .LBB0_13
; %bb.12:
	s_add_u32 s0, s16, s14
	s_mov_b32 s14, 0x226b903
	v_mul_hi_u32 v5, v0, s14
	s_addc_u32 s1, s17, s15
	s_load_dwordx2 s[0:1], s[0:1], 0x0
	v_mul_u32_u24_e32 v5, 0x77, v5
	v_sub_u32_e32 v52, v0, v5
	v_mad_u64_u32 v[5:6], s[14:15], s20, v52, 0
	s_waitcnt lgkmcnt(0)
	v_mul_lo_u32 v11, s1, v3
	v_mul_lo_u32 v12, s0, v4
	v_mad_u64_u32 v[7:8], s[0:1], s0, v3, 0
	v_mov_b32_e32 v0, v6
	v_mad_u64_u32 v[9:10], s[0:1], s21, v52, v[0:1]
	v_add3_u32 v8, v8, v12, v11
	v_lshlrev_b64 v[7:8], 3, v[7:8]
	v_mov_b32_e32 v0, s9
	v_add_co_u32_e64 v11, s[0:1], s8, v7
	v_add_u32_e32 v54, 0x77, v52
	v_mov_b32_e32 v6, v9
	v_addc_co_u32_e64 v0, s[0:1], v0, v8, s[0:1]
	v_mad_u64_u32 v[9:10], s[0:1], s20, v54, 0
	v_lshlrev_b64 v[7:8], 3, v[39:40]
	v_add_u32_e32 v53, 0xee, v52
	v_add_co_u32_e64 v13, s[0:1], v11, v7
	v_addc_co_u32_e64 v14, s[0:1], v0, v8, s[0:1]
	v_mov_b32_e32 v0, v10
	v_mad_u64_u32 v[7:8], s[0:1], s21, v54, v[0:1]
	v_mad_u64_u32 v[11:12], s[0:1], s20, v53, 0
	v_lshlrev_b64 v[5:6], 3, v[5:6]
	v_mov_b32_e32 v10, v7
	v_add_co_u32_e64 v33, s[0:1], v13, v5
	v_mov_b32_e32 v0, v12
	v_addc_co_u32_e64 v34, s[0:1], v14, v6, s[0:1]
	v_lshlrev_b64 v[5:6], 3, v[9:10]
	v_mad_u64_u32 v[7:8], s[0:1], s21, v53, v[0:1]
	v_add_u32_e32 v10, 0x165, v52
	v_mad_u64_u32 v[8:9], s[0:1], s20, v10, 0
	v_add_co_u32_e64 v37, s[0:1], v13, v5
	v_mov_b32_e32 v0, v9
	v_addc_co_u32_e64 v38, s[0:1], v14, v6, s[0:1]
	v_mov_b32_e32 v12, v7
	v_mad_u64_u32 v[9:10], s[0:1], s21, v10, v[0:1]
	v_add_u32_e32 v7, 0x1dc, v52
	v_lshlrev_b64 v[5:6], 3, v[11:12]
	v_mad_u64_u32 v[10:11], s[0:1], s20, v7, 0
	v_add_co_u32_e64 v39, s[0:1], v13, v5
	v_mov_b32_e32 v0, v11
	v_addc_co_u32_e64 v40, s[0:1], v14, v6, s[0:1]
	v_lshlrev_b64 v[5:6], 3, v[8:9]
	v_mad_u64_u32 v[7:8], s[0:1], s21, v7, v[0:1]
	v_add_u32_e32 v12, 0x253, v52
	v_mad_u64_u32 v[8:9], s[0:1], s20, v12, 0
	v_add_co_u32_e64 v41, s[0:1], v13, v5
	v_mov_b32_e32 v11, v7
	v_mov_b32_e32 v0, v9
	v_addc_co_u32_e64 v42, s[0:1], v14, v6, s[0:1]
	v_lshlrev_b64 v[5:6], 3, v[10:11]
	v_mad_u64_u32 v[9:10], s[0:1], s21, v12, v[0:1]
	v_add_u32_e32 v7, 0x2ca, v52
	v_mad_u64_u32 v[10:11], s[0:1], s20, v7, 0
	v_add_co_u32_e64 v43, s[0:1], v13, v5
	v_mov_b32_e32 v0, v11
	v_addc_co_u32_e64 v44, s[0:1], v14, v6, s[0:1]
	v_lshlrev_b64 v[5:6], 3, v[8:9]
	v_mad_u64_u32 v[7:8], s[0:1], s21, v7, v[0:1]
	v_add_u32_e32 v12, 0x341, v52
	v_mad_u64_u32 v[8:9], s[0:1], s20, v12, 0
	v_add_co_u32_e64 v45, s[0:1], v13, v5
	v_mov_b32_e32 v11, v7
	v_mov_b32_e32 v0, v9
	v_addc_co_u32_e64 v46, s[0:1], v14, v6, s[0:1]
	v_lshlrev_b64 v[5:6], 3, v[10:11]
	v_mad_u64_u32 v[9:10], s[0:1], s21, v12, v[0:1]
	v_add_u32_e32 v7, 0x3b8, v52
	;; [unrolled: 15-line block ×6, first 2 shown]
	v_mad_u64_u32 v[10:11], s[0:1], s20, v7, 0
	v_add_co_u32_e64 v67, s[0:1], v13, v5
	v_mov_b32_e32 v0, v11
	v_addc_co_u32_e64 v68, s[0:1], v14, v6, s[0:1]
	v_lshlrev_b64 v[5:6], 3, v[8:9]
	v_mad_u64_u32 v[7:8], s[0:1], s21, v7, v[0:1]
	v_add_co_u32_e64 v69, s[0:1], v13, v5
	v_mov_b32_e32 v11, v7
	v_addc_co_u32_e64 v70, s[0:1], v14, v6, s[0:1]
	v_lshlrev_b64 v[5:6], 3, v[10:11]
	v_mov_b32_e32 v51, v52
	v_add_co_u32_e64 v71, s[0:1], v13, v5
	v_addc_co_u32_e64 v72, s[0:1], v14, v6, s[0:1]
	global_load_dwordx2 v[29:30], v[33:34], off
	global_load_dwordx2 v[35:36], v[37:38], off
	global_load_dwordx2 v[31:32], v[39:40], off
	global_load_dwordx2 v[25:26], v[41:42], off
	global_load_dwordx2 v[21:22], v[43:44], off
	global_load_dwordx2 v[17:18], v[45:46], off
	global_load_dwordx2 v[13:14], v[47:48], off
	global_load_dwordx2 v[9:10], v[49:50], off
	global_load_dwordx2 v[5:6], v[55:56], off
	global_load_dwordx2 v[7:8], v[57:58], off
	global_load_dwordx2 v[11:12], v[59:60], off
	global_load_dwordx2 v[15:16], v[61:62], off
	global_load_dwordx2 v[19:20], v[63:64], off
	global_load_dwordx2 v[23:24], v[65:66], off
	global_load_dwordx2 v[27:28], v[67:68], off
                                        ; kill: killed $vgpr57 killed $vgpr58
                                        ; kill: killed $vgpr43 killed $vgpr44
                                        ; kill: killed $vgpr61 killed $vgpr62
                                        ; kill: killed $vgpr47 killed $vgpr48
                                        ; kill: killed $vgpr33 killed $vgpr34
                                        ; kill: killed $vgpr65 killed $vgpr66
                                        ; kill: killed $vgpr55 killed $vgpr56
                                        ; kill: killed $vgpr41 killed $vgpr42
                                        ; kill: killed $vgpr59 killed $vgpr60
                                        ; kill: killed $vgpr45 killed $vgpr46
                                        ; kill: killed $vgpr37 killed $vgpr38
                                        ; kill: killed $vgpr63 killed $vgpr64
                                        ; kill: killed $vgpr49 killed $vgpr50
                                        ; kill: killed $vgpr39 killed $vgpr40
                                        ; kill: killed $vgpr67 killed $vgpr68
	global_load_dwordx2 v[33:34], v[69:70], off
	global_load_dwordx2 v[37:38], v[71:72], off
.LBB0_13:
	s_or_b64 exec, exec, s[6:7]
	s_waitcnt vmcnt(0)
	v_sub_f32_e32 v40, v36, v38
	v_mul_f32_e32 v41, 0xbeb8f4ab, v40
	v_mul_f32_e32 v43, 0xbf2c7751, v40
	v_mul_f32_e32 v45, 0xbf65296c, v40
	v_mul_f32_e32 v47, 0xbf7ee86f, v40
	v_mul_f32_e32 v49, 0xbf763a35, v40
	v_mul_f32_e32 v55, 0xbf4c4adb, v40
	v_mul_f32_e32 v57, 0xbf06c442, v40
	v_mul_f32_e32 v40, 0xbe3c28d5, v40
	v_add_f32_e32 v39, v35, v37
	s_mov_b32 s16, 0x3f6eb680
	v_mov_b32_e32 v42, v41
	s_mov_b32 s14, 0x3f3d2fb0
	v_mov_b32_e32 v44, v43
	;; [unrolled: 2-line block ×8, first 2 shown]
	v_fmac_f32_e32 v42, 0x3f6eb680, v39
	v_fma_f32 v41, v39, s16, -v41
	v_fmac_f32_e32 v44, 0x3f3d2fb0, v39
	v_fma_f32 v43, v39, s14, -v43
	;; [unrolled: 2-line block ×8, first 2 shown]
	v_sub_f32_e32 v40, v32, v34
	v_add_f32_e32 v0, v35, v29
	v_add_f32_e32 v42, v42, v29
	;; [unrolled: 1-line block ×18, first 2 shown]
	v_mul_f32_e32 v60, 0xbf2c7751, v40
	v_mov_b32_e32 v61, v60
	v_fma_f32 v60, v39, s14, -v60
	v_fmac_f32_e32 v61, 0x3f3d2fb0, v39
	v_add_f32_e32 v41, v60, v41
	v_mul_f32_e32 v60, 0xbf7ee86f, v40
	v_add_f32_e32 v42, v61, v42
	v_mov_b32_e32 v61, v60
	v_fma_f32 v60, v39, s8, -v60
	v_fmac_f32_e32 v61, 0x3dbcf732, v39
	v_add_f32_e32 v43, v60, v43
	v_mul_f32_e32 v60, 0xbf4c4adb, v40
	v_add_f32_e32 v44, v61, v44
	v_mov_b32_e32 v61, v60
	v_fma_f32 v60, v39, s17, -v60
	v_fmac_f32_e32 v61, 0xbf1a4643, v39
	v_add_f32_e32 v45, v60, v45
	v_mul_f32_e32 v60, 0xbe3c28d5, v40
	v_add_f32_e32 v46, v61, v46
	v_mov_b32_e32 v61, v60
	v_fma_f32 v60, v39, s19, -v60
	v_fmac_f32_e32 v61, 0xbf7ba420, v39
	v_add_f32_e32 v47, v60, v47
	v_mul_f32_e32 v60, 0x3f06c442, v40
	v_add_f32_e32 v48, v61, v48
	v_mov_b32_e32 v61, v60
	v_fma_f32 v60, v39, s18, -v60
	v_fmac_f32_e32 v61, 0xbf59a7d5, v39
	v_add_f32_e32 v49, v60, v49
	v_mul_f32_e32 v60, 0x3f763a35, v40
	v_add_f32_e32 v50, v61, v50
	v_mov_b32_e32 v61, v60
	v_fma_f32 v60, v39, s15, -v60
	v_fmac_f32_e32 v61, 0xbe8c1d8e, v39
	v_add_f32_e32 v55, v60, v55
	v_mul_f32_e32 v60, 0x3f65296c, v40
	v_add_f32_e32 v56, v61, v56
	v_mov_b32_e32 v61, v60
	v_fma_f32 v60, v39, s9, -v60
	v_mul_f32_e32 v40, 0x3eb8f4ab, v40
	v_add_f32_e32 v57, v60, v57
	v_mov_b32_e32 v60, v40
	v_fmac_f32_e32 v61, 0x3ee437d1, v39
	v_fmac_f32_e32 v60, 0x3f6eb680, v39
	v_fma_f32 v39, v39, s16, -v40
	v_sub_f32_e32 v40, v26, v28
	v_add_f32_e32 v59, v60, v59
	v_add_f32_e32 v29, v39, v29
	v_add_f32_e32 v39, v25, v27
	v_mul_f32_e32 v60, 0xbf65296c, v40
	v_add_f32_e32 v58, v61, v58
	v_mov_b32_e32 v61, v60
	v_fma_f32 v60, v39, s9, -v60
	v_fmac_f32_e32 v61, 0x3ee437d1, v39
	v_add_f32_e32 v41, v60, v41
	v_mul_f32_e32 v60, 0xbf4c4adb, v40
	v_add_f32_e32 v42, v61, v42
	v_mov_b32_e32 v61, v60
	v_fma_f32 v60, v39, s17, -v60
	v_fmac_f32_e32 v61, 0xbf1a4643, v39
	v_add_f32_e32 v43, v60, v43
	v_mul_f32_e32 v60, 0x3e3c28d5, v40
	v_add_f32_e32 v44, v61, v44
	v_mov_b32_e32 v61, v60
	v_fma_f32 v60, v39, s19, -v60
	v_fmac_f32_e32 v61, 0xbf7ba420, v39
	v_add_f32_e32 v45, v60, v45
	v_mul_f32_e32 v60, 0x3f763a35, v40
	v_add_f32_e32 v46, v61, v46
	v_mov_b32_e32 v61, v60
	v_fma_f32 v60, v39, s15, -v60
	v_fmac_f32_e32 v61, 0xbe8c1d8e, v39
	v_add_f32_e32 v47, v60, v47
	v_mul_f32_e32 v60, 0x3f2c7751, v40
	v_add_f32_e32 v48, v61, v48
	v_mov_b32_e32 v61, v60
	v_fma_f32 v60, v39, s14, -v60
	v_fmac_f32_e32 v61, 0x3f3d2fb0, v39
	v_add_f32_e32 v49, v60, v49
	v_mul_f32_e32 v60, 0xbeb8f4ab, v40
	v_add_f32_e32 v50, v61, v50
	v_mov_b32_e32 v61, v60
	v_fma_f32 v60, v39, s16, -v60
	v_fmac_f32_e32 v61, 0x3f6eb680, v39
	v_add_f32_e32 v55, v60, v55
	v_mul_f32_e32 v60, 0xbf7ee86f, v40
	v_add_f32_e32 v56, v61, v56
	v_mov_b32_e32 v61, v60
	v_fma_f32 v60, v39, s8, -v60
	v_mul_f32_e32 v40, 0xbf06c442, v40
	v_add_f32_e32 v57, v60, v57
	v_mov_b32_e32 v60, v40
	v_fmac_f32_e32 v61, 0x3dbcf732, v39
	v_fmac_f32_e32 v60, 0xbf59a7d5, v39
	v_fma_f32 v39, v39, s18, -v40
	v_sub_f32_e32 v40, v22, v24
	v_add_f32_e32 v59, v60, v59
	v_add_f32_e32 v29, v39, v29
	v_add_f32_e32 v39, v21, v23
	v_mul_f32_e32 v60, 0xbf7ee86f, v40
	v_add_f32_e32 v58, v61, v58
	;; [unrolled: 50-line block ×5, first 2 shown]
	v_mov_b32_e32 v61, v60
	v_fma_f32 v60, v39, s18, -v60
	v_fmac_f32_e32 v61, 0xbf59a7d5, v39
	v_add_f32_e32 v41, v60, v41
	v_mul_f32_e32 v60, 0x3f65296c, v40
	v_add_f32_e32 v42, v61, v42
	v_mov_b32_e32 v61, v60
	v_fma_f32 v60, v39, s9, -v60
	v_fmac_f32_e32 v61, 0x3ee437d1, v39
	v_add_f32_e32 v43, v60, v43
	v_mul_f32_e32 v60, 0xbf7ee86f, v40
	v_add_f32_e32 v44, v61, v44
	;; [unrolled: 6-line block ×5, first 2 shown]
	v_mov_b32_e32 v61, v60
	v_fmac_f32_e32 v61, 0xbf7ba420, v39
	v_add_f32_e32 v61, v61, v56
	v_fma_f32 v56, v39, s19, -v60
	v_add_f32_e32 v60, v56, v55
	v_mul_f32_e32 v55, 0x3f2c7751, v40
	v_mov_b32_e32 v56, v55
	v_fma_f32 v55, v39, s14, -v55
	v_mul_f32_e32 v40, 0xbf763a35, v40
	v_add_f32_e32 v57, v55, v57
	v_mov_b32_e32 v55, v40
	v_fmac_f32_e32 v56, 0x3f3d2fb0, v39
	v_fmac_f32_e32 v55, 0xbe8c1d8e, v39
	v_fma_f32 v39, v39, s15, -v40
	v_sub_f32_e32 v62, v6, v8
	v_add_f32_e32 v39, v39, v29
	v_mul_f32_e32 v29, 0xbe3c28d5, v62
	v_add_f32_e32 v59, v55, v59
	v_add_f32_e32 v40, v5, v7
	v_mov_b32_e32 v55, v29
	v_add_f32_e32 v0, v31, v0
	v_fmac_f32_e32 v55, 0xbf7ba420, v40
	v_fma_f32 v29, v40, s19, -v29
	v_add_f32_e32 v0, v25, v0
	v_add_f32_e32 v42, v55, v42
	;; [unrolled: 1-line block ×3, first 2 shown]
	v_mul_f32_e32 v29, 0x3eb8f4ab, v62
	v_add_f32_e32 v0, v21, v0
	v_mov_b32_e32 v41, v29
	v_fma_f32 v29, v40, s16, -v29
	v_add_f32_e32 v0, v17, v0
	v_add_f32_e32 v58, v56, v58
	v_add_f32_e32 v56, v29, v43
	v_mul_f32_e32 v29, 0xbf06c442, v62
	v_add_f32_e32 v0, v13, v0
	v_fmac_f32_e32 v41, 0x3f6eb680, v40
	v_mov_b32_e32 v43, v29
	v_add_f32_e32 v0, v9, v0
	v_add_f32_e32 v41, v41, v44
	v_fmac_f32_e32 v43, 0xbf59a7d5, v40
	v_fma_f32 v29, v40, s18, -v29
	v_mul_f32_e32 v44, 0x3f2c7751, v62
	v_add_f32_e32 v0, v5, v0
	v_add_f32_e32 v43, v43, v46
	;; [unrolled: 1-line block ×3, first 2 shown]
	v_mov_b32_e32 v45, v44
	v_fma_f32 v44, v40, s14, -v44
	v_mul_f32_e32 v46, 0xbf4c4adb, v62
	v_add_f32_e32 v0, v7, v0
	v_fmac_f32_e32 v45, 0x3f3d2fb0, v40
	v_add_f32_e32 v44, v44, v47
	v_mov_b32_e32 v47, v46
	v_add_f32_e32 v0, v11, v0
	v_add_f32_e32 v45, v45, v48
	v_fmac_f32_e32 v47, 0xbf1a4643, v40
	v_fma_f32 v46, v40, s17, -v46
	v_mul_f32_e32 v48, 0x3f65296c, v62
	v_add_f32_e32 v0, v15, v0
	v_add_f32_e32 v47, v47, v50
	;; [unrolled: 1-line block ×3, first 2 shown]
	v_mov_b32_e32 v49, v48
	v_fma_f32 v48, v40, s9, -v48
	v_mul_f32_e32 v50, 0xbf763a35, v62
	v_add_f32_e32 v0, v19, v0
	v_add_f32_e32 v48, v48, v60
	v_mov_b32_e32 v60, v50
	v_fma_f32 v50, v40, s15, -v50
	v_add_f32_e32 v0, v23, v0
	v_fmac_f32_e32 v60, 0xbe8c1d8e, v40
	v_add_f32_e32 v50, v50, v57
	v_mul_f32_e32 v57, 0x3f7ee86f, v62
	v_add_f32_e32 v0, v27, v0
	v_add_f32_e32 v58, v60, v58
	v_mov_b32_e32 v60, v57
	v_add_f32_e32 v0, v33, v0
	v_fmac_f32_e32 v60, 0x3dbcf732, v40
	s_movk_i32 s0, 0x44
	v_add_f32_e32 v0, v37, v0
	v_fmac_f32_e32 v49, 0x3ee437d1, v40
	v_add_f32_e32 v60, v60, v59
	v_fma_f32 v40, v40, s8, -v57
	v_mad_u32_u24 v59, v52, s0, 0
	s_load_dwordx2 s[4:5], s[4:5], 0x0
	v_add_f32_e32 v49, v49, v61
	v_add_f32_e32 v39, v40, v39
	ds_write2_b32 v59, v0, v42 offset1:1
	ds_write2_b32 v59, v41, v43 offset0:2 offset1:3
	ds_write2_b32 v59, v45, v47 offset0:4 offset1:5
	;; [unrolled: 1-line block ×7, first 2 shown]
	ds_write_b32 v59, v55 offset:64
	v_lshlrev_b32_e32 v0, 6, v52
	v_sub_u32_e32 v0, v59, v0
	v_add_u32_e32 v66, 0x400, v0
	v_add_u32_e32 v67, 0x800, v0
	;; [unrolled: 1-line block ×6, first 2 shown]
	s_waitcnt lgkmcnt(0)
	s_barrier
	ds_read2_b32 v[39:40], v66 offset0:33 offset1:152
	ds_read2_b32 v[41:42], v67 offset0:66 offset1:185
	;; [unrolled: 1-line block ×6, first 2 shown]
	v_lshl_add_u32 v57, v54, 2, 0
	ds_read_b32 v61, v0
	ds_read_b32 v60, v57
	v_cmp_gt_u32_e64 s[0:1], 51, v52
	v_lshl_add_u32 v58, v53, 2, 0
                                        ; implicit-def: $vgpr64
                                        ; implicit-def: $vgpr62
                                        ; implicit-def: $vgpr63
                                        ; implicit-def: $vgpr65
	s_and_saveexec_b64 s[6:7], s[0:1]
	s_cbranch_execz .LBB0_15
; %bb.14:
	ds_read_b32 v56, v0 offset:2108
	ds_read_b32 v55, v0 offset:3264
	;; [unrolled: 1-line block ×5, first 2 shown]
	ds_read_b32 v29, v58
	ds_read_b32 v62, v0 offset:7888
.LBB0_15:
	s_or_b64 exec, exec, s[6:7]
	v_add_f32_e32 v72, v36, v30
	v_add_f32_e32 v72, v32, v72
	;; [unrolled: 1-line block ×14, first 2 shown]
	v_sub_f32_e32 v35, v35, v37
	v_add_f32_e32 v72, v34, v72
	v_add_f32_e32 v36, v36, v38
	v_mul_f32_e32 v37, 0xbeb8f4ab, v35
	v_mul_f32_e32 v73, 0xbf2c7751, v35
	;; [unrolled: 1-line block ×8, first 2 shown]
	v_sub_f32_e32 v31, v31, v33
	v_add_f32_e32 v72, v38, v72
	v_fma_f32 v38, v36, s16, -v37
	v_fmac_f32_e32 v37, 0x3f6eb680, v36
	v_fma_f32 v74, v36, s14, -v73
	v_fmac_f32_e32 v73, 0x3f3d2fb0, v36
	;; [unrolled: 2-line block ×8, first 2 shown]
	v_add_f32_e32 v32, v32, v34
	v_mul_f32_e32 v33, 0xbf2c7751, v31
	v_add_f32_e32 v38, v38, v30
	v_add_f32_e32 v37, v37, v30
	;; [unrolled: 1-line block ×16, first 2 shown]
	v_fma_f32 v34, v32, s14, -v33
	v_fmac_f32_e32 v33, 0x3f3d2fb0, v32
	v_mul_f32_e32 v35, 0xbf7ee86f, v31
	v_add_f32_e32 v33, v33, v37
	v_fma_f32 v36, v32, s8, -v35
	v_fmac_f32_e32 v35, 0x3dbcf732, v32
	v_mul_f32_e32 v37, 0xbf4c4adb, v31
	v_add_f32_e32 v34, v34, v38
	v_add_f32_e32 v35, v35, v73
	v_fma_f32 v38, v32, s17, -v37
	v_fmac_f32_e32 v37, 0xbf1a4643, v32
	v_mul_f32_e32 v73, 0xbe3c28d5, v31
	v_add_f32_e32 v36, v36, v74
	;; [unrolled: 5-line block ×4, first 2 shown]
	v_add_f32_e32 v75, v75, v79
	v_fma_f32 v78, v32, s15, -v77
	v_fmac_f32_e32 v77, 0xbe8c1d8e, v32
	v_mul_f32_e32 v79, 0x3f65296c, v31
	v_mul_f32_e32 v31, 0x3eb8f4ab, v31
	v_sub_f32_e32 v25, v25, v27
	v_add_f32_e32 v77, v77, v81
	v_fma_f32 v81, v32, s16, -v31
	v_fmac_f32_e32 v31, 0x3f6eb680, v32
	v_add_f32_e32 v26, v26, v28
	v_mul_f32_e32 v27, 0xbf65296c, v25
	v_add_f32_e32 v30, v31, v30
	v_fma_f32 v28, v26, s9, -v27
	v_fmac_f32_e32 v27, 0x3ee437d1, v26
	v_mul_f32_e32 v31, 0xbf4c4adb, v25
	v_add_f32_e32 v76, v76, v80
	v_fma_f32 v80, v32, s9, -v79
	v_fmac_f32_e32 v79, 0x3ee437d1, v32
	v_add_f32_e32 v27, v27, v33
	v_fma_f32 v32, v26, s17, -v31
	v_fmac_f32_e32 v31, 0xbf1a4643, v26
	v_mul_f32_e32 v33, 0x3e3c28d5, v25
	v_add_f32_e32 v28, v28, v34
	v_add_f32_e32 v31, v31, v35
	v_fma_f32 v34, v26, s19, -v33
	v_fmac_f32_e32 v33, 0xbf7ba420, v26
	v_mul_f32_e32 v35, 0x3f763a35, v25
	v_add_f32_e32 v32, v32, v36
	v_add_f32_e32 v33, v33, v37
	v_fma_f32 v36, v26, s15, -v35
	v_fmac_f32_e32 v35, 0xbe8c1d8e, v26
	v_mul_f32_e32 v37, 0x3f2c7751, v25
	v_add_f32_e32 v34, v34, v38
	v_add_f32_e32 v35, v35, v73
	v_fma_f32 v38, v26, s14, -v37
	v_fmac_f32_e32 v37, 0x3f3d2fb0, v26
	v_mul_f32_e32 v73, 0xbeb8f4ab, v25
	v_sub_f32_e32 v21, v21, v23
	v_add_f32_e32 v36, v36, v74
	v_add_f32_e32 v37, v37, v75
	v_fma_f32 v74, v26, s16, -v73
	v_fmac_f32_e32 v73, 0x3f6eb680, v26
	v_mul_f32_e32 v75, 0xbf7ee86f, v25
	v_mul_f32_e32 v25, 0xbf06c442, v25
	v_add_f32_e32 v22, v22, v24
	v_mul_f32_e32 v23, 0xbf7ee86f, v21
	v_add_f32_e32 v38, v38, v76
	v_add_f32_e32 v73, v73, v77
	v_fma_f32 v76, v26, s8, -v75
	v_fmac_f32_e32 v75, 0x3dbcf732, v26
	v_fma_f32 v77, v26, s18, -v25
	v_fmac_f32_e32 v25, 0xbf59a7d5, v26
	v_fma_f32 v24, v22, s8, -v23
	v_fmac_f32_e32 v23, 0x3dbcf732, v22
	v_mul_f32_e32 v26, 0xbe3c28d5, v21
	v_add_f32_e32 v24, v24, v28
	v_add_f32_e32 v23, v23, v27
	v_fma_f32 v27, v22, s19, -v26
	v_fmac_f32_e32 v26, 0xbf7ba420, v22
	v_mul_f32_e32 v28, 0x3f763a35, v21
	v_add_f32_e32 v25, v25, v30
	v_add_f32_e32 v26, v26, v31
	v_fma_f32 v30, v22, s15, -v28
	v_fmac_f32_e32 v28, 0xbe8c1d8e, v22
	v_mul_f32_e32 v31, 0x3eb8f4ab, v21
	v_add_f32_e32 v27, v27, v32
	v_add_f32_e32 v28, v28, v33
	v_fma_f32 v32, v22, s16, -v31
	v_fmac_f32_e32 v31, 0x3f6eb680, v22
	v_mul_f32_e32 v33, 0xbf65296c, v21
	v_add_f32_e32 v30, v30, v34
	v_add_f32_e32 v31, v31, v35
	v_fma_f32 v34, v22, s9, -v33
	v_fmac_f32_e32 v33, 0x3ee437d1, v22
	v_mul_f32_e32 v35, 0xbf06c442, v21
	v_sub_f32_e32 v17, v17, v19
	v_add_f32_e32 v32, v32, v36
	v_add_f32_e32 v33, v33, v37
	v_fma_f32 v36, v22, s18, -v35
	v_fmac_f32_e32 v35, 0xbf59a7d5, v22
	v_mul_f32_e32 v37, 0x3f4c4adb, v21
	v_mul_f32_e32 v21, 0x3f2c7751, v21
	v_add_f32_e32 v18, v18, v20
	v_mul_f32_e32 v19, 0xbf763a35, v17
	v_add_f32_e32 v34, v34, v38
	v_add_f32_e32 v35, v35, v73
	v_fma_f32 v38, v22, s17, -v37
	v_fmac_f32_e32 v37, 0xbf1a4643, v22
	v_fma_f32 v73, v22, s14, -v21
	v_fmac_f32_e32 v21, 0x3f3d2fb0, v22
	v_fma_f32 v20, v18, s15, -v19
	v_fmac_f32_e32 v19, 0xbe8c1d8e, v18
	v_mul_f32_e32 v22, 0x3f06c442, v17
	v_add_f32_e32 v20, v20, v24
	;; [unrolled: 38-line block ×4, first 2 shown]
	v_fma_f32 v15, v10, s9, -v14
	v_fmac_f32_e32 v14, 0x3ee437d1, v10
	v_add_f32_e32 v78, v78, v82
	v_add_f32_e32 v12, v12, v16
	;; [unrolled: 1-line block ×3, first 2 shown]
	v_mul_f32_e32 v16, 0xbf7ee86f, v9
	v_mul_f32_e32 v18, 0x3f4c4adb, v9
	v_add_f32_e32 v79, v79, v83
	v_add_f32_e32 v74, v74, v78
	;; [unrolled: 1-line block ×4, first 2 shown]
	v_fma_f32 v17, v10, s8, -v16
	v_fmac_f32_e32 v16, 0x3dbcf732, v10
	v_fma_f32 v19, v10, s17, -v18
	v_fmac_f32_e32 v18, 0xbf1a4643, v10
	v_add_f32_e32 v75, v75, v79
	v_add_f32_e32 v36, v36, v74
	;; [unrolled: 1-line block ×4, first 2 shown]
	v_mul_f32_e32 v20, 0xbeb8f4ab, v9
	v_mul_f32_e32 v22, 0xbe3c28d5, v9
	v_sub_f32_e32 v5, v5, v7
	v_add_f32_e32 v37, v37, v75
	v_add_f32_e32 v32, v32, v36
	;; [unrolled: 1-line block ×4, first 2 shown]
	v_fma_f32 v21, v10, s16, -v20
	v_fmac_f32_e32 v20, 0x3f6eb680, v10
	v_fma_f32 v23, v10, s19, -v22
	v_fmac_f32_e32 v22, 0xbf7ba420, v10
	v_add_f32_e32 v6, v6, v8
	v_mul_f32_e32 v7, 0xbe3c28d5, v5
	v_add_f32_e32 v80, v80, v84
	v_add_f32_e32 v81, v81, v85
	;; [unrolled: 1-line block ×6, first 2 shown]
	v_mul_f32_e32 v22, 0x3f2c7751, v9
	v_fma_f32 v8, v6, s19, -v7
	v_fmac_f32_e32 v7, 0xbf7ba420, v6
	v_add_f32_e32 v76, v76, v80
	v_add_f32_e32 v77, v77, v81
	;; [unrolled: 1-line block ×5, first 2 shown]
	v_fma_f32 v25, v10, s14, -v22
	v_fmac_f32_e32 v22, 0x3f3d2fb0, v10
	v_mul_f32_e32 v9, 0xbf763a35, v9
	v_add_f32_e32 v27, v7, v11
	v_mul_f32_e32 v7, 0x3eb8f4ab, v5
	v_add_f32_e32 v38, v38, v76
	v_add_f32_e32 v73, v73, v77
	;; [unrolled: 1-line block ×3, first 2 shown]
	v_fma_f32 v22, v10, s15, -v9
	v_fmac_f32_e32 v9, 0xbe8c1d8e, v10
	v_fma_f32 v10, v6, s16, -v7
	v_fmac_f32_e32 v7, 0x3f6eb680, v6
	v_add_f32_e32 v34, v34, v38
	v_add_f32_e32 v35, v35, v73
	v_add_f32_e32 v28, v7, v14
	v_mul_f32_e32 v7, 0xbf06c442, v5
	v_add_f32_e32 v30, v30, v34
	v_add_f32_e32 v31, v31, v35
	v_fma_f32 v11, v6, s18, -v7
	v_fmac_f32_e32 v7, 0xbf59a7d5, v6
	v_add_f32_e32 v25, v25, v30
	v_add_f32_e32 v30, v22, v31
	;; [unrolled: 1-line block ×3, first 2 shown]
	v_mul_f32_e32 v7, 0x3f2c7751, v5
	v_add_f32_e32 v9, v9, v13
	v_add_f32_e32 v8, v8, v12
	;; [unrolled: 1-line block ×4, first 2 shown]
	v_fma_f32 v12, v6, s14, -v7
	v_fmac_f32_e32 v7, 0x3f3d2fb0, v6
	v_mul_f32_e32 v13, 0xbf4c4adb, v5
	v_mul_f32_e32 v15, 0x3f65296c, v5
	;; [unrolled: 1-line block ×4, first 2 shown]
	v_add_f32_e32 v12, v12, v19
	v_add_f32_e32 v7, v7, v18
	v_fma_f32 v14, v6, s17, -v13
	v_fmac_f32_e32 v13, 0xbf1a4643, v6
	v_fma_f32 v16, v6, s9, -v15
	v_fmac_f32_e32 v15, 0x3ee437d1, v6
	v_fma_f32 v18, v6, s15, -v17
	v_fmac_f32_e32 v17, 0xbe8c1d8e, v6
	v_fma_f32 v19, v6, s8, -v5
	v_fmac_f32_e32 v5, 0x3dbcf732, v6
	v_add_f32_e32 v14, v14, v21
	v_add_f32_e32 v13, v13, v20
	;; [unrolled: 1-line block ×8, first 2 shown]
	s_waitcnt lgkmcnt(0)
	s_barrier
	ds_write2_b32 v59, v72, v8 offset1:1
	ds_write2_b32 v59, v10, v11 offset0:2 offset1:3
	ds_write2_b32 v59, v12, v14 offset0:4 offset1:5
	;; [unrolled: 1-line block ×7, first 2 shown]
	ds_write_b32 v59, v27 offset:64
	s_waitcnt lgkmcnt(0)
	s_barrier
	ds_read2_b32 v[15:16], v66 offset0:33 offset1:152
	ds_read2_b32 v[13:14], v67 offset0:66 offset1:185
	;; [unrolled: 1-line block ×6, first 2 shown]
	ds_read_b32 v18, v0
	ds_read_b32 v17, v57
                                        ; implicit-def: $vgpr30
                                        ; implicit-def: $vgpr34
                                        ; implicit-def: $vgpr32
                                        ; implicit-def: $vgpr31
	s_and_saveexec_b64 s[6:7], s[0:1]
	s_cbranch_execz .LBB0_17
; %bb.16:
	ds_read_b32 v28, v0 offset:2108
	ds_read_b32 v27, v0 offset:3264
	;; [unrolled: 1-line block ×5, first 2 shown]
	ds_read_b32 v22, v58
	ds_read_b32 v34, v0 offset:7888
.LBB0_17:
	s_or_b64 exec, exec, s[6:7]
	s_movk_i32 s6, 0xf1
	v_mul_lo_u16_sdwa v19, v52, s6 dst_sel:DWORD dst_unused:UNUSED_PAD src0_sel:BYTE_0 src1_sel:DWORD
	v_mul_lo_u16_sdwa v21, v54, s6 dst_sel:DWORD dst_unused:UNUSED_PAD src0_sel:BYTE_0 src1_sel:DWORD
	v_lshrrev_b16_e32 v104, 12, v19
	v_lshrrev_b16_e32 v106, 12, v21
	v_mul_lo_u16_e32 v19, 17, v104
	v_mul_lo_u16_e32 v21, 17, v106
	v_sub_u16_e32 v105, v52, v19
	v_mov_b32_e32 v19, 6
	v_sub_u16_e32 v107, v54, v21
	v_mul_u32_u24_sdwa v20, v105, v19 dst_sel:DWORD dst_unused:UNUSED_PAD src0_sel:BYTE_0 src1_sel:DWORD
	v_mul_u32_u24_sdwa v19, v107, v19 dst_sel:DWORD dst_unused:UNUSED_PAD src0_sel:BYTE_0 src1_sel:DWORD
	v_lshlrev_b32_e32 v20, 3, v20
	v_lshlrev_b32_e32 v19, 3, v19
	s_mov_b32 s6, 0xf0f1
	global_load_dwordx4 v[68:71], v20, s[12:13]
	global_load_dwordx4 v[72:75], v20, s[12:13] offset:16
	global_load_dwordx4 v[76:79], v20, s[12:13] offset:32
	global_load_dwordx4 v[80:83], v19, s[12:13]
	global_load_dwordx4 v[84:87], v19, s[12:13] offset:32
	global_load_dwordx4 v[88:91], v19, s[12:13] offset:16
	v_mul_u32_u24_sdwa v19, v53, s6 dst_sel:DWORD dst_unused:UNUSED_PAD src0_sel:WORD_0 src1_sel:DWORD
	v_lshrrev_b32_e32 v23, 20, v19
	v_mul_lo_u16_e32 v19, 17, v23
	v_sub_u16_e32 v108, v53, v19
	v_mul_u32_u24_e32 v19, 6, v108
	v_lshlrev_b32_e32 v19, 3, v19
	global_load_dwordx4 v[92:95], v19, s[12:13]
	global_load_dwordx4 v[96:99], v19, s[12:13] offset:16
	global_load_dwordx4 v[100:103], v19, s[12:13] offset:32
	s_mov_b32 s8, 0xbf5ff5aa
	s_mov_b32 s9, 0x3f3bfb3b
	;; [unrolled: 1-line block ×4, first 2 shown]
	s_waitcnt vmcnt(0) lgkmcnt(0)
	s_barrier
	v_mul_f32_e32 v38, v15, v69
	v_mul_f32_e32 v33, v39, v69
	;; [unrolled: 1-line block ×21, first 2 shown]
	v_fmac_f32_e32 v54, v43, v72
	v_fma_f32 v43, v9, v74, -v73
	v_fma_f32 v9, v14, v82, -v81
	v_mul_f32_e32 v14, v64, v99
	v_mul_f32_e32 v37, v6, v87
	;; [unrolled: 1-line block ×7, first 2 shown]
	v_fmac_f32_e32 v66, v47, v76
	v_fma_f32 v47, v5, v78, -v77
	v_fma_f32 v5, v28, v92, -v91
	v_mul_f32_e32 v28, v30, v99
	v_fma_f32 v30, v30, v98, -v14
	v_mul_f32_e32 v14, v63, v101
	v_mul_f32_e32 v26, v31, v97
	v_fmac_f32_e32 v38, v39, v68
	v_fmac_f32_e32 v53, v41, v70
	v_fma_f32 v41, v11, v72, -v71
	v_fmac_f32_e32 v67, v49, v78
	v_fma_f32 v11, v12, v88, -v83
	v_fma_f32 v12, v6, v86, -v87
	;; [unrolled: 1-line block ×4, first 2 shown]
	v_mul_f32_e32 v31, v32, v101
	v_fma_f32 v32, v32, v100, -v14
	v_mul_f32_e32 v14, v62, v103
	v_fma_f32 v15, v15, v68, -v33
	v_fmac_f32_e32 v59, v45, v74
	v_mul_f32_e32 v33, v34, v103
	v_fma_f32 v34, v34, v102, -v14
	v_add_f32_e32 v14, v38, v67
	v_add_f32_e32 v39, v53, v66
	v_mul_f32_e32 v36, v8, v85
	v_fma_f32 v13, v13, v70, -v69
	v_fma_f32 v45, v7, v76, -v75
	v_fmac_f32_e32 v20, v42, v82
	v_fmac_f32_e32 v35, v46, v90
	v_add_f32_e32 v42, v54, v59
	v_add_f32_e32 v46, v39, v14
	v_mul_f32_e32 v85, v48, v85
	v_fmac_f32_e32 v19, v40, v80
	v_fma_f32 v7, v16, v80, -v79
	v_fmac_f32_e32 v21, v44, v88
	v_fmac_f32_e32 v36, v48, v84
	v_sub_f32_e32 v16, v15, v47
	v_sub_f32_e32 v40, v13, v45
	;; [unrolled: 1-line block ×6, first 2 shown]
	v_add_f32_e32 v42, v42, v46
	v_fmac_f32_e32 v37, v50, v86
	v_add_f32_e32 v49, v44, v40
	v_sub_f32_e32 v50, v44, v40
	v_sub_f32_e32 v40, v40, v16
	v_add_f32_e32 v46, v61, v42
	v_fmac_f32_e32 v24, v56, v92
	v_fmac_f32_e32 v25, v55, v94
	v_sub_f32_e32 v44, v16, v44
	v_add_f32_e32 v16, v49, v16
	v_mul_f32_e32 v14, 0x3f4a47b2, v14
	v_mul_f32_e32 v49, 0x3d64c772, v39
	;; [unrolled: 1-line block ×4, first 2 shown]
	v_mov_b32_e32 v56, v46
	v_fmac_f32_e32 v56, 0xbf955555, v42
	v_fma_f32 v42, v48, s9, -v49
	v_fma_f32 v48, v48, s14, -v14
	v_fmac_f32_e32 v14, 0x3d64c772, v39
	v_fma_f32 v39, v40, s8, -v50
	v_fmac_f32_e32 v50, 0xbeae86e6, v44
	v_fma_f32 v40, v44, s15, -v55
	v_add_f32_e32 v14, v14, v56
	v_add_f32_e32 v42, v42, v56
	;; [unrolled: 1-line block ×3, first 2 shown]
	v_fmac_f32_e32 v50, 0xbee1c552, v16
	v_fmac_f32_e32 v39, 0xbee1c552, v16
	;; [unrolled: 1-line block ×3, first 2 shown]
	v_add_f32_e32 v16, v50, v14
	v_add_f32_e32 v48, v40, v44
	v_sub_f32_e32 v49, v42, v39
	v_add_f32_e32 v39, v39, v42
	v_sub_f32_e32 v42, v44, v40
	v_sub_f32_e32 v14, v14, v50
	v_add_f32_e32 v40, v19, v37
	v_add_f32_e32 v50, v20, v36
	v_fma_f32 v10, v10, v90, -v89
	v_fma_f32 v8, v8, v84, -v85
	v_fmac_f32_e32 v33, v62, v102
	v_add_f32_e32 v56, v21, v35
	v_add_f32_e32 v62, v50, v40
	v_fmac_f32_e32 v31, v63, v100
	v_sub_f32_e32 v44, v7, v12
	v_sub_f32_e32 v55, v9, v8
	;; [unrolled: 1-line block ×6, first 2 shown]
	v_add_f32_e32 v56, v56, v62
	v_fmac_f32_e32 v26, v65, v96
	v_fmac_f32_e32 v28, v64, v98
	v_add_f32_e32 v64, v61, v55
	v_sub_f32_e32 v65, v61, v55
	v_sub_f32_e32 v55, v55, v44
	v_add_f32_e32 v60, v60, v56
	v_sub_f32_e32 v61, v44, v61
	v_add_f32_e32 v44, v64, v44
	v_mul_f32_e32 v40, 0x3f4a47b2, v40
	v_mul_f32_e32 v62, 0x3d64c772, v50
	;; [unrolled: 1-line block ×4, first 2 shown]
	v_mov_b32_e32 v68, v60
	v_fmac_f32_e32 v68, 0xbf955555, v56
	v_fma_f32 v56, v63, s9, -v62
	v_fma_f32 v62, v63, s14, -v40
	v_fmac_f32_e32 v40, 0x3d64c772, v50
	v_fma_f32 v50, v55, s8, -v64
	v_fma_f32 v55, v61, s15, -v65
	v_fmac_f32_e32 v64, 0xbeae86e6, v61
	v_add_f32_e32 v61, v62, v68
	v_fmac_f32_e32 v55, 0xbee1c552, v44
	v_add_f32_e32 v40, v40, v68
	v_add_f32_e32 v56, v56, v68
	v_fmac_f32_e32 v64, 0xbee1c552, v44
	v_fmac_f32_e32 v50, 0xbee1c552, v44
	v_add_f32_e32 v62, v55, v61
	v_sub_f32_e32 v55, v61, v55
	v_mov_b32_e32 v61, 2
	v_add_f32_e32 v44, v64, v40
	v_sub_f32_e32 v63, v56, v50
	v_add_f32_e32 v50, v50, v56
	v_sub_f32_e32 v56, v40, v64
	v_mul_u32_u24_e32 v40, 0x1dc, v104
	v_lshlrev_b32_sdwa v64, v61, v105 dst_sel:DWORD dst_unused:UNUSED_PAD src0_sel:DWORD src1_sel:BYTE_0
	v_add3_u32 v40, 0, v40, v64
	ds_write2_b32 v40, v46, v16 offset1:17
	ds_write2_b32 v40, v48, v49 offset0:34 offset1:51
	ds_write2_b32 v40, v39, v42 offset0:68 offset1:85
	ds_write_b32 v40, v14 offset:408
	v_mul_u32_u24_e32 v14, 0x1dc, v106
	v_lshlrev_b32_sdwa v16, v61, v107 dst_sel:DWORD dst_unused:UNUSED_PAD src0_sel:DWORD src1_sel:BYTE_0
	v_add3_u32 v42, 0, v14, v16
	v_lshlrev_b32_e32 v39, 2, v108
	ds_write2_b32 v42, v60, v44 offset1:17
	ds_write2_b32 v42, v62, v63 offset0:34 offset1:51
	ds_write2_b32 v42, v50, v55 offset0:68 offset1:85
	ds_write_b32 v42, v56 offset:408
	s_and_saveexec_b64 s[6:7], s[0:1]
	s_cbranch_execz .LBB0_19
; %bb.18:
	v_add_f32_e32 v14, v24, v33
	v_add_f32_e32 v16, v26, v28
	v_sub_f32_e32 v44, v14, v16
	v_mul_f32_e32 v44, 0x3f4a47b2, v44
	v_add_f32_e32 v46, v25, v31
	v_sub_f32_e32 v48, v16, v46
	v_mov_b32_e32 v50, v44
	v_mul_f32_e32 v49, 0x3d64c772, v48
	v_fmac_f32_e32 v50, 0x3d64c772, v48
	v_add_f32_e32 v48, v46, v14
	v_add_f32_e32 v16, v16, v48
	;; [unrolled: 1-line block ×3, first 2 shown]
	v_mov_b32_e32 v48, v29
	v_fmac_f32_e32 v48, 0xbf955555, v16
	v_sub_f32_e32 v55, v30, v27
	v_sub_f32_e32 v60, v6, v32
	v_add_f32_e32 v16, v50, v48
	v_sub_f32_e32 v50, v5, v34
	v_sub_f32_e32 v61, v55, v60
	;; [unrolled: 1-line block ×3, first 2 shown]
	v_mul_f32_e32 v61, 0x3f08b237, v61
	v_add_f32_e32 v55, v55, v60
	v_sub_f32_e32 v14, v46, v14
	v_sub_f32_e32 v46, v60, v50
	v_add_f32_e32 v55, v55, v50
	v_fma_f32 v44, v14, s14, -v44
	v_mul_f32_e32 v50, 0xbf5ff5aa, v46
	v_fma_f32 v46, v46, s8, -v61
	v_fma_f32 v14, v14, s9, -v49
	v_mov_b32_e32 v62, v61
	v_fmac_f32_e32 v46, 0xbee1c552, v55
	v_add_f32_e32 v14, v14, v48
	v_fmac_f32_e32 v62, 0xbeae86e6, v56
	v_add_f32_e32 v44, v44, v48
	v_add_f32_e32 v48, v46, v14
	v_sub_f32_e32 v14, v14, v46
	v_mul_lo_u16_e32 v46, 0x77, v23
	v_fmac_f32_e32 v62, 0xbee1c552, v55
	v_fma_f32 v50, v56, s15, -v50
	v_lshlrev_b32_e32 v46, 2, v46
	v_sub_f32_e32 v63, v16, v62
	v_fmac_f32_e32 v50, 0xbee1c552, v55
	v_add_f32_e32 v16, v62, v16
	v_add3_u32 v46, 0, v39, v46
	v_sub_f32_e32 v56, v44, v50
	v_add_f32_e32 v44, v50, v44
	ds_write2_b32 v46, v29, v16 offset1:17
	ds_write2_b32 v46, v44, v14 offset0:34 offset1:51
	ds_write2_b32 v46, v48, v56 offset0:68 offset1:85
	ds_write_b32 v46, v63 offset:408
.LBB0_19:
	s_or_b64 exec, exec, s[6:7]
	v_add_f32_e32 v14, v15, v47
	v_add_f32_e32 v13, v13, v45
	;; [unrolled: 1-line block ×4, first 2 shown]
	v_sub_f32_e32 v15, v38, v67
	v_sub_f32_e32 v16, v53, v66
	;; [unrolled: 1-line block ×6, first 2 shown]
	v_add_f32_e32 v29, v29, v41
	v_add_f32_e32 v44, v38, v16
	v_sub_f32_e32 v45, v38, v16
	v_add_f32_e32 v41, v18, v29
	v_sub_f32_e32 v38, v15, v38
	v_sub_f32_e32 v16, v16, v15
	v_add_f32_e32 v15, v44, v15
	v_mul_f32_e32 v14, 0x3f4a47b2, v14
	v_mul_f32_e32 v18, 0x3d64c772, v13
	;; [unrolled: 1-line block ×3, first 2 shown]
	v_mov_b32_e32 v46, v41
	v_fmac_f32_e32 v46, 0xbf955555, v29
	v_fma_f32 v18, v43, s9, -v18
	v_fma_f32 v29, v43, s14, -v14
	v_fmac_f32_e32 v14, 0x3d64c772, v13
	v_fma_f32 v13, v16, s8, -v44
	v_mul_f32_e32 v45, 0xbf5ff5aa, v16
	v_fmac_f32_e32 v44, 0xbeae86e6, v38
	v_add_f32_e32 v18, v18, v46
	v_fmac_f32_e32 v13, 0xbee1c552, v15
	v_add_f32_e32 v7, v7, v12
	v_add_f32_e32 v8, v9, v8
	v_fma_f32 v16, v38, s15, -v45
	v_add_f32_e32 v14, v14, v46
	v_add_f32_e32 v29, v29, v46
	v_fmac_f32_e32 v44, 0xbee1c552, v15
	v_add_f32_e32 v45, v13, v18
	v_sub_f32_e32 v46, v18, v13
	v_add_f32_e32 v10, v11, v10
	v_add_f32_e32 v13, v8, v7
	v_fmac_f32_e32 v16, 0xbee1c552, v15
	v_sub_f32_e32 v38, v14, v44
	v_add_f32_e32 v44, v44, v14
	v_sub_f32_e32 v9, v20, v36
	v_sub_f32_e32 v11, v35, v21
	;; [unrolled: 1-line block ×5, first 2 shown]
	v_add_f32_e32 v10, v10, v13
	v_sub_f32_e32 v43, v29, v16
	v_add_f32_e32 v47, v16, v29
	v_sub_f32_e32 v12, v19, v37
	;; [unrolled: 2-line block ×4, first 2 shown]
	v_sub_f32_e32 v9, v9, v12
	v_add_f32_e32 v12, v15, v12
	v_mul_f32_e32 v7, 0x3f4a47b2, v7
	v_mul_f32_e32 v13, 0x3d64c772, v8
	;; [unrolled: 1-line block ×3, first 2 shown]
	v_mov_b32_e32 v17, v36
	v_fmac_f32_e32 v17, 0xbf955555, v10
	v_fma_f32 v10, v14, s9, -v13
	v_fma_f32 v13, v14, s14, -v7
	v_fmac_f32_e32 v7, 0x3d64c772, v8
	v_fma_f32 v8, v9, s8, -v15
	v_fmac_f32_e32 v15, 0xbeae86e6, v11
	v_mul_f32_e32 v16, 0xbf5ff5aa, v9
	v_add_f32_e32 v7, v7, v17
	v_fmac_f32_e32 v15, 0xbee1c552, v12
	v_fma_f32 v9, v11, s15, -v16
	v_sub_f32_e32 v37, v7, v15
	v_add_f32_e32 v54, v15, v7
	v_add_u32_e32 v7, 0x400, v0
	v_add_f32_e32 v11, v13, v17
	v_fmac_f32_e32 v9, 0xbee1c552, v12
	s_waitcnt lgkmcnt(0)
	s_barrier
	ds_read_b32 v21, v0
	ds_read_b32 v35, v57
	;; [unrolled: 1-line block ×3, first 2 shown]
	ds_read2_b32 v[15:16], v7 offset0:101 offset1:220
	v_add_u32_e32 v7, 0x800, v0
	v_add_f32_e32 v10, v10, v17
	v_fmac_f32_e32 v8, 0xbee1c552, v12
	v_sub_f32_e32 v48, v11, v9
	v_add_f32_e32 v53, v9, v11
	ds_read2_b32 v[11:12], v7 offset0:83 offset1:202
	v_add_u32_e32 v7, 0xc00, v0
	v_add_u32_e32 v9, 0x1000, v0
	;; [unrolled: 1-line block ×5, first 2 shown]
	v_add_f32_e32 v49, v8, v10
	v_sub_f32_e32 v50, v10, v8
	ds_read2_b32 v[7:8], v7 offset0:65 offset1:184
	ds_read2_b32 v[9:10], v9 offset0:47 offset1:166
	;; [unrolled: 1-line block ×5, first 2 shown]
	s_waitcnt lgkmcnt(0)
	s_barrier
	ds_write2_b32 v40, v41, v38 offset1:17
	ds_write2_b32 v40, v43, v45 offset0:34 offset1:51
	ds_write2_b32 v40, v46, v47 offset0:68 offset1:85
	ds_write_b32 v40, v44 offset:408
	ds_write2_b32 v42, v36, v37 offset1:17
	ds_write2_b32 v42, v48, v49 offset0:34 offset1:51
	ds_write2_b32 v42, v50, v53 offset0:68 offset1:85
	ds_write_b32 v42, v54 offset:408
	s_and_saveexec_b64 s[6:7], s[0:1]
	s_cbranch_execz .LBB0_21
; %bb.20:
	v_add_f32_e32 v5, v5, v34
	v_add_f32_e32 v6, v6, v32
	;; [unrolled: 1-line block ×3, first 2 shown]
	v_sub_f32_e32 v26, v28, v26
	v_add_f32_e32 v28, v6, v5
	v_sub_f32_e32 v30, v6, v5
	v_sub_f32_e32 v5, v5, v27
	;; [unrolled: 1-line block ×3, first 2 shown]
	v_add_f32_e32 v27, v27, v28
	v_sub_f32_e32 v25, v25, v31
	v_add_f32_e32 v22, v22, v27
	v_sub_f32_e32 v24, v24, v33
	;; [unrolled: 2-line block ×3, first 2 shown]
	v_mul_f32_e32 v28, 0x3d64c772, v6
	v_mov_b32_e32 v33, v22
	s_mov_b32 s1, 0x3f3bfb3b
	v_sub_f32_e32 v26, v24, v26
	v_sub_f32_e32 v25, v25, v24
	v_add_f32_e32 v24, v31, v24
	v_mul_f32_e32 v5, 0x3f4a47b2, v5
	v_mul_f32_e32 v31, 0x3f08b237, v32
	s_mov_b32 s0, 0xbf5ff5aa
	v_fmac_f32_e32 v33, 0xbf955555, v27
	v_fma_f32 v27, v30, s1, -v28
	s_mov_b32 s1, 0xbf3bfb3b
	v_mul_f32_e32 v32, 0xbf5ff5aa, v25
	v_fma_f32 v28, v30, s1, -v5
	v_fmac_f32_e32 v5, 0x3d64c772, v6
	v_fma_f32 v6, v25, s0, -v31
	v_fmac_f32_e32 v31, 0xbeae86e6, v26
	s_mov_b32 s0, 0x3eae86e6
	v_mul_lo_u16_e32 v23, 0x77, v23
	v_fma_f32 v25, v26, s0, -v32
	v_add_f32_e32 v5, v5, v33
	v_fmac_f32_e32 v31, 0xbee1c552, v24
	v_lshlrev_b32_e32 v23, 2, v23
	v_add_f32_e32 v26, v27, v33
	v_add_f32_e32 v27, v28, v33
	v_fmac_f32_e32 v6, 0xbee1c552, v24
	v_fmac_f32_e32 v25, 0xbee1c552, v24
	v_sub_f32_e32 v24, v5, v31
	v_add3_u32 v23, 0, v39, v23
	v_sub_f32_e32 v28, v27, v25
	v_add_f32_e32 v30, v6, v26
	v_sub_f32_e32 v6, v26, v6
	v_add_f32_e32 v25, v25, v27
	v_add_f32_e32 v5, v31, v5
	ds_write2_b32 v23, v22, v24 offset1:17
	ds_write2_b32 v23, v28, v30 offset0:34 offset1:51
	ds_write2_b32 v23, v6, v25 offset0:68 offset1:85
	ds_write_b32 v23, v5 offset:408
.LBB0_21:
	s_or_b64 exec, exec, s[6:7]
	s_waitcnt lgkmcnt(0)
	s_barrier
	s_and_saveexec_b64 s[0:1], vcc
	s_cbranch_execz .LBB0_23
; %bb.22:
	v_lshlrev_b32_e32 v5, 4, v52
	v_mov_b32_e32 v6, 0
	v_lshlrev_b64 v[5:6], 3, v[5:6]
	v_mov_b32_e32 v22, s13
	v_add_co_u32_e32 v27, vcc, s12, v5
	v_addc_co_u32_e32 v28, vcc, v22, v6, vcc
	global_load_dwordx4 v[23:26], v[27:28], off offset:816
	global_load_dwordx4 v[40:43], v[27:28], off offset:928
	;; [unrolled: 1-line block ×6, first 2 shown]
	v_mul_lo_u32 v30, s5, v3
	v_mad_u64_u32 v[5:6], s[0:1], s4, v3, 0
	v_add_u32_e32 v3, 0x1a00, v0
	v_mul_lo_u32 v31, s4, v4
	ds_read_b32 v47, v57
	ds_read_b32 v22, v0
	;; [unrolled: 1-line block ×3, first 2 shown]
	v_add_u32_e32 v32, 0x400, v0
	v_add_u32_e32 v33, 0x1800, v0
	;; [unrolled: 1-line block ×4, first 2 shown]
	ds_read2_b32 v[3:4], v3 offset0:121 offset1:240
	ds_read2_b32 v[37:38], v32 offset0:101 offset1:220
	;; [unrolled: 1-line block ×5, first 2 shown]
	global_load_dwordx4 v[86:89], v[27:28], off offset:864
	global_load_dwordx4 v[90:93], v[27:28], off offset:880
	v_add3_u32 v6, v6, v31, v30
	s_mov_b32 s0, 0x3f6eb680
	s_mov_b32 s1, 0x3f3d2fb0
	;; [unrolled: 1-line block ×8, first 2 shown]
	v_lshlrev_b64 v[5:6], 3, v[5:6]
	v_add_co_u32_e32 v5, vcc, s10, v5
	s_waitcnt vmcnt(7)
	v_mul_f32_e32 v31, v35, v23
	s_waitcnt vmcnt(6)
	v_mul_f32_e32 v27, v20, v42
	v_mul_f32_e32 v33, v29, v25
	;; [unrolled: 1-line block ×3, first 2 shown]
	s_waitcnt lgkmcnt(7)
	v_fmac_f32_e32 v31, v47, v24
	s_waitcnt lgkmcnt(4)
	v_fmac_f32_e32 v27, v4, v43
	v_mul_f32_e32 v20, v20, v43
	v_mul_f32_e32 v35, v35, v24
	;; [unrolled: 1-line block ×3, first 2 shown]
	v_fmac_f32_e32 v33, v49, v26
	v_fmac_f32_e32 v28, v3, v41
	v_sub_f32_e32 v26, v31, v27
	v_mul_f32_e32 v19, v19, v41
	s_waitcnt vmcnt(4)
	v_mul_f32_e32 v30, v18, v65
	v_fma_f32 v44, v4, v42, -v20
	v_fma_f32 v52, v47, v23, -v35
	;; [unrolled: 1-line block ×3, first 2 shown]
	v_sub_f32_e32 v25, v33, v28
	v_mul_f32_e32 v72, 0xbeb8f4ab, v26
	v_mul_f32_e32 v34, v15, v59
	v_mul_f32_e32 v18, v18, v66
	v_fma_f32 v48, v3, v40, -v19
	s_waitcnt lgkmcnt(2)
	v_fmac_f32_e32 v30, v46, v66
	v_add_f32_e32 v66, v52, v44
	v_mul_f32_e32 v71, 0xbf2c7751, v25
	v_mov_b32_e32 v3, v72
	v_mul_f32_e32 v36, v16, v61
	v_mul_f32_e32 v32, v17, v63
	v_fmac_f32_e32 v34, v37, v60
	v_add_f32_e32 v67, v53, v48
	v_mov_b32_e32 v4, v71
	v_fmac_f32_e32 v3, 0x3f6eb680, v66
	v_mul_f32_e32 v15, v15, v60
	s_waitcnt vmcnt(3)
	v_mul_f32_e32 v39, v11, v78
	v_fmac_f32_e32 v36, v38, v62
	v_fmac_f32_e32 v32, v45, v64
	v_sub_f32_e32 v24, v34, v30
	v_fmac_f32_e32 v4, 0x3f3d2fb0, v67
	v_add_f32_e32 v3, v22, v3
	s_waitcnt vmcnt(2)
	v_mul_f32_e32 v56, v14, v84
	v_mul_f32_e32 v17, v17, v64
	;; [unrolled: 1-line block ×3, first 2 shown]
	v_fma_f32 v49, v46, v65, -v18
	v_fma_f32 v54, v37, v59, -v15
	v_sub_f32_e32 v23, v36, v32
	v_mul_f32_e32 v70, 0xbf65296c, v24
	v_add_f32_e32 v3, v3, v4
	s_waitcnt lgkmcnt(1)
	v_fmac_f32_e32 v39, v73, v79
	s_waitcnt lgkmcnt(0)
	v_fmac_f32_e32 v56, v77, v85
	v_mul_f32_e32 v4, v14, v85
	v_fma_f32 v50, v45, v63, -v17
	v_fma_f32 v55, v38, v61, -v16
	v_add_f32_e32 v63, v54, v49
	v_mul_f32_e32 v69, 0xbf7ee86f, v23
	v_mov_b32_e32 v15, v70
	v_sub_f32_e32 v29, v39, v56
	v_fma_f32 v59, v77, v84, -v4
	v_mul_f32_e32 v4, v11, v79
	v_add_f32_e32 v64, v55, v50
	v_mov_b32_e32 v16, v69
	v_fmac_f32_e32 v15, 0x3ee437d1, v63
	v_mul_f32_e32 v75, 0xbf763a35, v29
	v_fma_f32 v60, v73, v78, -v4
	v_fmac_f32_e32 v16, 0x3dbcf732, v64
	v_add_f32_e32 v3, v3, v15
	v_add_f32_e32 v77, v60, v59
	v_mov_b32_e32 v4, v75
	v_add_f32_e32 v3, v3, v16
	v_fmac_f32_e32 v4, 0xbe8c1d8e, v77
	v_add_f32_e32 v14, v3, v4
	v_mul_f32_e32 v3, v13, v83
	v_fma_f32 v61, v76, v82, -v3
	v_mul_f32_e32 v3, v12, v81
	v_fma_f32 v68, v74, v80, -v3
	v_add_u32_e32 v3, 0xc00, v0
	v_add_u32_e32 v0, 0x1000, v0
	v_mul_f32_e32 v58, v12, v80
	ds_read2_b32 v[3:4], v3 offset0:65 offset1:184
	ds_read2_b32 v[11:12], v0 offset0:47 offset1:166
	v_mul_f32_e32 v57, v13, v82
	v_fmac_f32_e32 v58, v74, v81
	v_fmac_f32_e32 v57, v76, v83
	s_waitcnt vmcnt(1)
	v_mul_f32_e32 v65, v7, v86
	s_waitcnt vmcnt(0)
	v_mul_f32_e32 v62, v10, v92
	v_sub_f32_e32 v35, v58, v57
	s_waitcnt lgkmcnt(1)
	v_fmac_f32_e32 v65, v3, v87
	s_waitcnt lgkmcnt(0)
	v_fmac_f32_e32 v62, v12, v93
	v_mul_f32_e32 v7, v7, v87
	v_mul_f32_e32 v73, v8, v88
	;; [unrolled: 1-line block ×4, first 2 shown]
	v_sub_f32_e32 v0, v65, v62
	v_mul_f32_e32 v10, v10, v93
	v_fma_f32 v78, v3, v86, -v7
	v_fmac_f32_e32 v73, v4, v89
	v_fmac_f32_e32 v74, v11, v91
	v_mul_f32_e32 v7, v9, v91
	v_add_f32_e32 v81, v68, v61
	v_mov_b32_e32 v13, v79
	v_mul_f32_e32 v83, 0xbf06c442, v0
	v_fma_f32 v76, v12, v92, -v10
	v_sub_f32_e32 v37, v73, v74
	v_fma_f32 v80, v11, v90, -v7
	v_mul_f32_e32 v7, v8, v89
	v_fmac_f32_e32 v13, 0xbf1a4643, v81
	v_add_f32_e32 v84, v78, v76
	v_mov_b32_e32 v3, v83
	v_mul_f32_e32 v85, 0xbe3c28d5, v37
	v_fma_f32 v82, v4, v88, -v7
	v_add_f32_e32 v13, v14, v13
	v_fmac_f32_e32 v3, 0xbf59a7d5, v84
	v_add_f32_e32 v86, v82, v80
	v_mov_b32_e32 v4, v85
	v_sub_f32_e32 v111, v52, v44
	v_add_f32_e32 v3, v13, v3
	v_fmac_f32_e32 v4, 0xbf7ba420, v86
	v_add_f32_e32 v38, v31, v27
	v_mul_f32_e32 v87, 0xbeb8f4ab, v111
	v_sub_f32_e32 v112, v53, v48
	v_add_f32_e32 v4, v3, v4
	v_fma_f32 v3, v38, s0, -v87
	v_add_f32_e32 v40, v33, v28
	v_mul_f32_e32 v88, 0xbf2c7751, v112
	v_sub_f32_e32 v113, v54, v49
	v_add_f32_e32 v3, v21, v3
	v_fma_f32 v7, v40, s1, -v88
	v_add_f32_e32 v41, v34, v30
	v_mul_f32_e32 v89, 0xbf65296c, v113
	v_sub_f32_e32 v114, v55, v50
	v_add_f32_e32 v3, v3, v7
	v_fma_f32 v7, v41, s4, -v89
	v_add_f32_e32 v43, v36, v32
	v_mul_f32_e32 v90, 0xbf7ee86f, v114
	v_sub_f32_e32 v116, v60, v59
	v_add_f32_e32 v3, v3, v7
	v_fma_f32 v7, v43, s5, -v90
	v_add_f32_e32 v46, v39, v56
	v_mul_f32_e32 v91, 0xbf763a35, v116
	v_sub_f32_e32 v117, v68, v61
	v_add_f32_e32 v3, v3, v7
	v_fma_f32 v7, v46, s6, -v91
	v_add_f32_e32 v42, v58, v57
	v_mul_f32_e32 v92, 0xbf4c4adb, v117
	v_sub_f32_e32 v118, v78, v76
	v_add_f32_e32 v3, v3, v7
	v_fma_f32 v7, v42, s7, -v92
	v_add_f32_e32 v45, v65, v62
	v_mul_f32_e32 v93, 0xbf06c442, v118
	v_sub_f32_e32 v115, v82, v80
	v_add_f32_e32 v3, v3, v7
	v_fma_f32 v7, v45, s8, -v93
	v_add_f32_e32 v47, v73, v74
	v_mul_f32_e32 v94, 0xbe3c28d5, v115
	v_add_f32_e32 v3, v3, v7
	v_fma_f32 v7, v47, s9, -v94
	v_mul_f32_e32 v96, 0xbf2c7751, v26
	v_add_f32_e32 v3, v3, v7
	v_mov_b32_e32 v7, v96
	v_mul_f32_e32 v97, 0xbf7ee86f, v25
	v_fmac_f32_e32 v7, 0x3f3d2fb0, v66
	v_mov_b32_e32 v8, v97
	v_add_f32_e32 v7, v22, v7
	v_fmac_f32_e32 v8, 0x3dbcf732, v67
	v_mul_f32_e32 v98, 0xbf4c4adb, v24
	v_add_f32_e32 v7, v7, v8
	v_mov_b32_e32 v8, v98
	v_fmac_f32_e32 v8, 0xbf1a4643, v63
	v_mul_f32_e32 v99, 0xbe3c28d5, v23
	v_add_f32_e32 v7, v7, v8
	v_mov_b32_e32 v8, v99
	;; [unrolled: 4-line block ×6, first 2 shown]
	v_fmac_f32_e32 v8, 0x3f6eb680, v86
	v_mul_f32_e32 v104, 0xbf2c7751, v111
	v_add_f32_e32 v8, v7, v8
	v_fma_f32 v7, v38, s1, -v104
	v_mul_f32_e32 v105, 0xbf7ee86f, v112
	v_add_f32_e32 v7, v21, v7
	v_fma_f32 v9, v40, s5, -v105
	;; [unrolled: 3-line block ×8, first 2 shown]
	v_mul_f32_e32 v121, 0xbf65296c, v26
	v_add_f32_e32 v7, v7, v9
	v_mov_b32_e32 v9, v121
	v_mul_f32_e32 v122, 0xbf4c4adb, v25
	v_fmac_f32_e32 v9, 0x3ee437d1, v66
	v_mov_b32_e32 v10, v122
	v_add_f32_e32 v9, v22, v9
	v_fmac_f32_e32 v10, 0xbf1a4643, v67
	v_mul_f32_e32 v123, 0x3e3c28d5, v24
	v_add_f32_e32 v9, v9, v10
	v_mov_b32_e32 v10, v123
	v_fmac_f32_e32 v10, 0xbf7ba420, v63
	v_mul_f32_e32 v124, 0x3f763a35, v23
	v_add_f32_e32 v9, v9, v10
	v_mov_b32_e32 v10, v124
	v_fmac_f32_e32 v10, 0xbe8c1d8e, v64
	v_mul_f32_e32 v125, 0x3f2c7751, v29
	v_add_f32_e32 v9, v9, v10
	v_mov_b32_e32 v10, v125
	v_fmac_f32_e32 v10, 0x3f3d2fb0, v77
	v_mul_f32_e32 v126, 0xbeb8f4ab, v35
	v_add_f32_e32 v9, v9, v10
	v_mov_b32_e32 v10, v126
	v_fmac_f32_e32 v10, 0x3f6eb680, v81
	v_mul_f32_e32 v127, 0xbf7ee86f, v0
	v_add_f32_e32 v9, v9, v10
	v_mov_b32_e32 v10, v127
	v_fmac_f32_e32 v10, 0x3dbcf732, v84
	v_mul_f32_e32 v128, 0xbf65296c, v111
	v_add_f32_e32 v9, v9, v10
	v_fma_f32 v10, v38, s4, -v128
	v_mul_f32_e32 v129, 0xbf4c4adb, v112
	v_add_f32_e32 v10, v21, v10
	v_fma_f32 v11, v40, s7, -v129
	;; [unrolled: 3-line block ×7, first 2 shown]
	v_mul_f32_e32 v135, 0xbf06c442, v37
	v_add_f32_e32 v11, v10, v11
	v_mov_b32_e32 v10, v135
	v_fmac_f32_e32 v10, 0xbf59a7d5, v86
	v_mul_f32_e32 v136, 0xbf06c442, v115
	v_add_f32_e32 v10, v9, v10
	v_fma_f32 v9, v47, s8, -v136
	v_mul_f32_e32 v19, 0xbf4c4adb, v26
	v_add_f32_e32 v9, v11, v9
	v_mov_b32_e32 v11, v19
	v_mul_f32_e32 v20, 0x3f763a35, v25
	v_fmac_f32_e32 v11, 0xbf1a4643, v66
	v_mov_b32_e32 v12, v20
	v_add_f32_e32 v11, v22, v11
	v_fmac_f32_e32 v12, 0xbe8c1d8e, v67
	v_mul_f32_e32 v119, 0xbeb8f4ab, v24
	v_add_f32_e32 v11, v11, v12
	v_mov_b32_e32 v12, v119
	v_fmac_f32_e32 v12, 0x3f6eb680, v63
	v_mul_f32_e32 v120, 0xbf06c442, v23
	v_add_f32_e32 v11, v11, v12
	v_mov_b32_e32 v12, v120
	;; [unrolled: 4-line block ×5, first 2 shown]
	v_fmac_f32_e32 v12, 0xbf7ba420, v84
	v_mul_f32_e32 v140, 0xbf4c4adb, v111
	v_add_f32_e32 v11, v11, v12
	v_fma_f32 v12, v38, s7, -v140
	v_mul_f32_e32 v141, 0x3f763a35, v112
	v_add_f32_e32 v12, v21, v12
	v_fma_f32 v13, v40, s6, -v141
	;; [unrolled: 3-line block ×7, first 2 shown]
	v_mul_f32_e32 v147, 0x3f65296c, v37
	v_add_f32_e32 v13, v12, v13
	v_mov_b32_e32 v12, v147
	v_fmac_f32_e32 v12, 0x3ee437d1, v86
	v_mul_f32_e32 v148, 0x3f65296c, v115
	v_add_f32_e32 v12, v11, v12
	v_fma_f32 v11, v47, s4, -v148
	v_mul_f32_e32 v15, 0xbe3c28d5, v26
	v_add_f32_e32 v11, v13, v11
	v_mov_b32_e32 v13, v15
	v_mul_f32_e32 v16, 0x3eb8f4ab, v25
	v_fmac_f32_e32 v13, 0xbf7ba420, v66
	v_mov_b32_e32 v14, v16
	v_add_f32_e32 v13, v22, v13
	v_fmac_f32_e32 v14, 0x3f6eb680, v67
	v_mul_f32_e32 v17, 0xbf06c442, v24
	v_add_f32_e32 v13, v13, v14
	v_mov_b32_e32 v14, v17
	v_fmac_f32_e32 v14, 0xbf59a7d5, v63
	v_mul_f32_e32 v18, 0x3f2c7751, v23
	v_add_f32_e32 v13, v13, v14
	v_mov_b32_e32 v14, v18
	;; [unrolled: 4-line block ×5, first 2 shown]
	v_fmac_f32_e32 v14, 0xbe8c1d8e, v84
	v_mul_f32_e32 v152, 0xbe3c28d5, v111
	v_add_f32_e32 v13, v13, v14
	v_fma_f32 v14, v38, s9, -v152
	v_mul_f32_e32 v153, 0x3eb8f4ab, v112
	v_add_f32_e32 v14, v21, v14
	v_fma_f32 v154, v40, s0, -v153
	v_fma_f32 v15, v66, s9, -v15
	v_add_f32_e32 v14, v14, v154
	v_mul_f32_e32 v154, 0xbf06c442, v113
	v_add_f32_e32 v15, v22, v15
	v_fma_f32 v16, v67, s0, -v16
	v_fma_f32 v155, v41, s8, -v154
	v_add_f32_e32 v15, v15, v16
	v_fma_f32 v16, v63, s8, -v17
	v_add_f32_e32 v14, v14, v155
	v_mul_f32_e32 v155, 0x3f2c7751, v114
	v_add_f32_e32 v15, v15, v16
	v_fma_f32 v16, v64, s1, -v18
	v_fma_f32 v156, v43, s1, -v155
	v_add_f32_e32 v15, v15, v16
	;; [unrolled: 7-line block ×3, first 2 shown]
	v_fma_f32 v16, v84, s6, -v151
	v_fmac_f32_e32 v152, 0xbf7ba420, v38
	v_add_f32_e32 v14, v14, v157
	v_mul_f32_e32 v157, 0x3f65296c, v117
	v_add_f32_e32 v15, v15, v16
	v_add_f32_e32 v16, v21, v152
	v_fmac_f32_e32 v153, 0x3f6eb680, v40
	v_fma_f32 v158, v42, s4, -v157
	v_add_f32_e32 v16, v16, v153
	v_fmac_f32_e32 v154, 0xbf59a7d5, v41
	v_add_f32_e32 v14, v14, v158
	v_mul_f32_e32 v158, 0xbf763a35, v118
	v_add_f32_e32 v16, v16, v154
	v_fmac_f32_e32 v155, 0x3f3d2fb0, v43
	v_fma_f32 v159, v45, s6, -v158
	v_mul_f32_e32 v160, 0x3f7ee86f, v37
	v_add_f32_e32 v16, v16, v155
	v_fmac_f32_e32 v156, 0xbf1a4643, v46
	v_add_f32_e32 v159, v14, v159
	v_mov_b32_e32 v14, v160
	v_add_f32_e32 v16, v16, v156
	v_fmac_f32_e32 v157, 0x3ee437d1, v42
	v_fmac_f32_e32 v14, 0x3dbcf732, v86
	v_mul_f32_e32 v161, 0x3f7ee86f, v115
	v_add_f32_e32 v16, v16, v157
	v_fmac_f32_e32 v158, 0xbe8c1d8e, v45
	v_fma_f32 v19, v66, s7, -v19
	v_add_f32_e32 v14, v13, v14
	v_fma_f32 v13, v47, s5, -v161
	v_add_f32_e32 v17, v16, v158
	v_fma_f32 v16, v86, s5, -v160
	v_fmac_f32_e32 v161, 0x3dbcf732, v47
	v_mul_f32_e32 v149, 0xbf59a7d5, v66
	v_add_f32_e32 v19, v22, v19
	v_fma_f32 v20, v67, s6, -v20
	v_add_f32_e32 v16, v15, v16
	v_add_f32_e32 v15, v17, v161
	v_mov_b32_e32 v17, v149
	v_mul_f32_e32 v150, 0x3ee437d1, v67
	v_add_f32_e32 v19, v19, v20
	v_fma_f32 v20, v63, s0, -v119
	v_fmac_f32_e32 v17, 0x3f06c442, v26
	v_mov_b32_e32 v18, v150
	v_add_f32_e32 v19, v19, v20
	v_fma_f32 v20, v64, s8, -v120
	v_add_f32_e32 v17, v22, v17
	v_fmac_f32_e32 v18, 0xbf65296c, v25
	v_mul_f32_e32 v151, 0x3dbcf732, v63
	v_add_f32_e32 v19, v19, v20
	v_fma_f32 v20, v77, s5, -v137
	v_add_f32_e32 v17, v17, v18
	v_mov_b32_e32 v18, v151
	v_add_f32_e32 v19, v19, v20
	v_fma_f32 v20, v81, s1, -v138
	v_fmac_f32_e32 v18, 0x3f7ee86f, v24
	v_mul_f32_e32 v152, 0xbf1a4643, v64
	v_add_f32_e32 v19, v19, v20
	v_fma_f32 v20, v84, s9, -v139
	v_fmac_f32_e32 v140, 0xbf1a4643, v38
	v_add_f32_e32 v17, v17, v18
	v_mov_b32_e32 v18, v152
	v_add_f32_e32 v19, v19, v20
	v_add_f32_e32 v20, v21, v140
	v_fmac_f32_e32 v141, 0xbe8c1d8e, v40
	v_fmac_f32_e32 v18, 0xbf4c4adb, v23
	v_mul_f32_e32 v153, 0x3f6eb680, v77
	v_add_f32_e32 v20, v20, v141
	v_fmac_f32_e32 v142, 0x3f6eb680, v41
	v_add_f32_e32 v17, v17, v18
	v_mov_b32_e32 v18, v153
	v_add_f32_e32 v20, v20, v142
	v_fmac_f32_e32 v143, 0xbf59a7d5, v43
	v_fmac_f32_e32 v18, 0x3eb8f4ab, v29
	v_mul_f32_e32 v154, 0xbf7ba420, v81
	v_add_f32_e32 v20, v20, v143
	v_fmac_f32_e32 v144, 0x3dbcf732, v46
	v_add_f32_e32 v17, v17, v18
	v_mov_b32_e32 v18, v154
	;; [unrolled: 8-line block ×3, first 2 shown]
	v_add_f32_e32 v119, v20, v146
	v_fma_f32 v20, v86, s4, -v147
	v_fmac_f32_e32 v148, 0x3ee437d1, v47
	v_mul_f32_e32 v137, 0xbe8c1d8e, v66
	v_fmac_f32_e32 v18, 0xbf2c7751, v0
	v_mul_f32_e32 v156, 0xbf06c442, v111
	v_add_f32_e32 v20, v19, v20
	v_add_f32_e32 v19, v119, v148
	v_mov_b32_e32 v119, v137
	v_mul_f32_e32 v138, 0xbf59a7d5, v67
	v_add_f32_e32 v17, v17, v18
	v_mov_b32_e32 v18, v156
	v_mul_f32_e32 v157, 0x3f65296c, v112
	v_fmac_f32_e32 v119, 0x3f763a35, v26
	v_mov_b32_e32 v120, v138
	v_fmac_f32_e32 v18, 0xbf59a7d5, v38
	v_mov_b32_e32 v158, v157
	v_add_f32_e32 v119, v22, v119
	v_fmac_f32_e32 v120, 0xbf06c442, v25
	v_mul_f32_e32 v139, 0x3f3d2fb0, v63
	v_add_f32_e32 v18, v21, v18
	v_fmac_f32_e32 v158, 0x3ee437d1, v40
	v_add_f32_e32 v119, v119, v120
	v_mov_b32_e32 v120, v139
	v_add_f32_e32 v18, v18, v158
	v_mul_f32_e32 v158, 0xbf7ee86f, v113
	v_fmac_f32_e32 v120, 0xbf2c7751, v24
	v_mul_f32_e32 v140, 0x3ee437d1, v64
	v_add_f32_e32 v13, v159, v13
	v_mov_b32_e32 v159, v158
	v_add_f32_e32 v119, v119, v120
	v_mov_b32_e32 v120, v140
	v_fmac_f32_e32 v159, 0x3dbcf732, v41
	v_fmac_f32_e32 v120, 0x3f65296c, v23
	v_mul_f32_e32 v141, 0xbf7ba420, v77
	v_add_f32_e32 v18, v18, v159
	v_mul_f32_e32 v159, 0x3f4c4adb, v114
	v_add_f32_e32 v119, v119, v120
	v_mov_b32_e32 v120, v141
	v_mov_b32_e32 v160, v159
	v_fmac_f32_e32 v120, 0x3e3c28d5, v29
	v_mul_f32_e32 v142, 0x3dbcf732, v81
	v_fmac_f32_e32 v160, 0xbf1a4643, v43
	v_add_f32_e32 v119, v119, v120
	v_mov_b32_e32 v120, v142
	v_add_f32_e32 v18, v18, v160
	v_mul_f32_e32 v160, 0xbeb8f4ab, v116
	v_fmac_f32_e32 v120, 0xbf7ee86f, v35
	v_mul_f32_e32 v143, 0x3f6eb680, v84
	v_mov_b32_e32 v161, v160
	v_add_f32_e32 v119, v119, v120
	v_mov_b32_e32 v120, v143
	v_fmac_f32_e32 v161, 0x3f6eb680, v46
	v_fmac_f32_e32 v120, 0x3eb8f4ab, v0
	v_mul_f32_e32 v144, 0xbf763a35, v111
	v_add_f32_e32 v18, v18, v161
	v_mul_f32_e32 v161, 0xbe3c28d5, v117
	v_add_f32_e32 v119, v119, v120
	v_mov_b32_e32 v120, v144
	v_mul_f32_e32 v145, 0x3f06c442, v112
	v_mov_b32_e32 v162, v161
	v_fmac_f32_e32 v120, 0xbe8c1d8e, v38
	v_mov_b32_e32 v146, v145
	v_fmac_f32_e32 v162, 0xbf7ba420, v42
	v_add_f32_e32 v120, v21, v120
	v_fmac_f32_e32 v146, 0xbf59a7d5, v40
	v_add_f32_e32 v18, v18, v162
	v_mul_f32_e32 v162, 0x3f2c7751, v118
	v_add_f32_e32 v120, v120, v146
	v_mul_f32_e32 v146, 0x3f2c7751, v113
	v_mov_b32_e32 v163, v162
	v_mov_b32_e32 v147, v146
	v_fmac_f32_e32 v163, 0x3f3d2fb0, v45
	v_mul_f32_e32 v164, 0xbe8c1d8e, v86
	v_fmac_f32_e32 v147, 0x3f3d2fb0, v41
	v_add_f32_e32 v163, v18, v163
	v_mov_b32_e32 v18, v164
	v_add_f32_e32 v120, v120, v147
	v_mul_f32_e32 v147, 0xbf65296c, v114
	v_fmac_f32_e32 v18, 0x3f763a35, v37
	v_mul_f32_e32 v165, 0xbf763a35, v115
	v_mov_b32_e32 v148, v147
	v_add_f32_e32 v18, v17, v18
	v_mov_b32_e32 v17, v165
	v_fmac_f32_e32 v148, 0x3ee437d1, v43
	v_fmac_f32_e32 v17, 0xbe8c1d8e, v47
	v_add_f32_e32 v120, v120, v148
	v_mul_f32_e32 v148, 0xbe3c28d5, v116
	v_add_f32_e32 v17, v163, v17
	v_mov_b32_e32 v163, v148
	v_fmac_f32_e32 v163, 0xbf7ba420, v46
	v_add_f32_e32 v120, v120, v163
	v_mul_f32_e32 v163, 0x3f7ee86f, v117
	v_mov_b32_e32 v166, v163
	v_fmac_f32_e32 v166, 0x3dbcf732, v42
	v_add_f32_e32 v120, v120, v166
	v_mul_f32_e32 v166, 0xbeb8f4ab, v118
	v_mov_b32_e32 v167, v166
	v_fmac_f32_e32 v167, 0x3f6eb680, v45
	v_mul_f32_e32 v168, 0xbf1a4643, v86
	v_add_f32_e32 v167, v120, v167
	v_mov_b32_e32 v120, v168
	v_fmac_f32_e32 v120, 0x3f4c4adb, v37
	v_mul_f32_e32 v169, 0xbf4c4adb, v115
	v_add_f32_e32 v120, v119, v120
	v_mov_b32_e32 v119, v169
	v_fmac_f32_e32 v119, 0xbf1a4643, v47
	v_add_f32_e32 v119, v167, v119
	v_mul_f32_e32 v167, 0x3dbcf732, v66
	v_mov_b32_e32 v170, v167
	v_mul_f32_e32 v171, 0xbf7ba420, v67
	v_fmac_f32_e32 v170, 0x3f7ee86f, v26
	v_mov_b32_e32 v172, v171
	v_add_f32_e32 v170, v22, v170
	v_fmac_f32_e32 v172, 0x3e3c28d5, v25
	v_add_f32_e32 v170, v170, v172
	v_mul_f32_e32 v172, 0xbe8c1d8e, v63
	v_add_f32_e32 v52, v52, v22
	v_add_f32_e32 v31, v21, v31
	v_mov_b32_e32 v173, v172
	v_add_f32_e32 v52, v52, v53
	v_add_f32_e32 v31, v31, v33
	v_fmac_f32_e32 v173, 0xbf763a35, v24
	v_add_f32_e32 v52, v52, v54
	v_add_f32_e32 v31, v31, v34
	v_add_f32_e32 v170, v170, v173
	v_mul_f32_e32 v173, 0x3f6eb680, v64
	v_add_f32_e32 v52, v52, v55
	v_add_f32_e32 v31, v31, v36
	v_mov_b32_e32 v174, v173
	v_add_f32_e32 v52, v52, v60
	v_add_f32_e32 v31, v31, v39
	v_fmac_f32_e32 v174, 0xbeb8f4ab, v23
	v_add_f32_e32 v52, v52, v68
	v_add_f32_e32 v31, v31, v58
	;; [unrolled: 10-line block ×5, first 2 shown]
	v_fmac_f32_e32 v149, 0xbf06c442, v26
	v_add_f32_e32 v170, v170, v177
	v_mul_f32_e32 v177, 0xbf7ee86f, v111
	v_add_f32_e32 v49, v44, v48
	v_add_f32_e32 v48, v27, v28
	;; [unrolled: 1-line block ×3, first 2 shown]
	v_fmac_f32_e32 v150, 0x3f65296c, v25
	v_mov_b32_e32 v111, v177
	v_mul_f32_e32 v178, 0xbe3c28d5, v112
	v_add_f32_e32 v27, v27, v150
	v_fmac_f32_e32 v151, 0xbf7ee86f, v24
	v_fmac_f32_e32 v111, 0x3dbcf732, v38
	v_mov_b32_e32 v112, v178
	v_add_f32_e32 v27, v27, v151
	v_fmac_f32_e32 v152, 0x3f4c4adb, v23
	v_add_f32_e32 v111, v21, v111
	v_fmac_f32_e32 v112, 0xbf7ba420, v40
	v_mul_f32_e32 v179, 0x3f763a35, v113
	v_add_f32_e32 v27, v27, v152
	v_fmac_f32_e32 v153, 0xbeb8f4ab, v29
	v_add_f32_e32 v111, v111, v112
	v_mov_b32_e32 v112, v179
	v_add_f32_e32 v27, v27, v153
	v_fmac_f32_e32 v154, 0xbe3c28d5, v35
	v_fmac_f32_e32 v112, 0xbe8c1d8e, v41
	v_mul_f32_e32 v180, 0x3eb8f4ab, v114
	v_add_f32_e32 v27, v27, v154
	v_fmac_f32_e32 v155, 0x3f2c7751, v0
	v_add_f32_e32 v111, v111, v112
	v_mov_b32_e32 v112, v180
	v_add_f32_e32 v27, v27, v155
	v_fmac_f32_e32 v164, 0xbf763a35, v37
	v_fmac_f32_e32 v112, 0x3f6eb680, v43
	v_mul_f32_e32 v116, 0xbf65296c, v116
	v_add_f32_e32 v28, v27, v164
	v_fma_f32 v27, v38, s8, -v156
	v_add_f32_e32 v111, v111, v112
	v_mov_b32_e32 v112, v116
	v_add_f32_e32 v27, v21, v27
	v_fma_f32 v30, v40, s4, -v157
	v_fmac_f32_e32 v112, 0x3ee437d1, v46
	v_mul_f32_e32 v117, 0xbf06c442, v117
	v_add_f32_e32 v27, v27, v30
	v_fma_f32 v30, v41, s5, -v158
	v_add_f32_e32 v111, v111, v112
	v_mov_b32_e32 v112, v117
	v_add_f32_e32 v27, v27, v30
	v_fma_f32 v30, v43, s7, -v159
	v_fmac_f32_e32 v112, 0xbf59a7d5, v42
	v_mul_f32_e32 v118, 0x3f4c4adb, v118
	v_add_f32_e32 v27, v27, v30
	v_fma_f32 v30, v46, s0, -v160
	v_add_f32_e32 v111, v111, v112
	v_mov_b32_e32 v112, v118
	v_mul_f32_e32 v115, 0x3f2c7751, v115
	v_add_f32_e32 v27, v27, v30
	v_fma_f32 v30, v42, s9, -v161
	v_fmac_f32_e32 v112, 0xbf1a4643, v45
	v_mov_b32_e32 v113, v115
	v_add_f32_e32 v27, v27, v30
	v_fma_f32 v30, v45, s1, -v162
	v_add_f32_e32 v111, v111, v112
	v_fmac_f32_e32 v113, 0x3f3d2fb0, v47
	v_add_f32_e32 v27, v27, v30
	v_fma_f32 v30, v47, s6, -v165
	v_fmac_f32_e32 v137, 0xbf763a35, v26
	v_add_f32_e32 v111, v111, v113
	v_fma_f32 v113, v66, s4, -v121
	v_fma_f32 v96, v66, s1, -v96
	;; [unrolled: 1-line block ×3, first 2 shown]
	v_add_f32_e32 v27, v27, v30
	v_add_f32_e32 v30, v22, v137
	v_fmac_f32_e32 v138, 0x3f06c442, v25
	v_fmac_f32_e32 v167, 0xbf7ee86f, v26
	v_add_f32_e32 v113, v22, v113
	v_add_f32_e32 v96, v22, v96
	;; [unrolled: 1-line block ×4, first 2 shown]
	v_fmac_f32_e32 v139, 0x3f2c7751, v24
	v_add_f32_e32 v22, v22, v167
	v_fmac_f32_e32 v171, 0xbe3c28d5, v25
	v_add_f32_e32 v30, v30, v139
	;; [unrolled: 2-line block ×3, first 2 shown]
	v_fmac_f32_e32 v172, 0x3f763a35, v24
	v_fma_f32 v114, v67, s7, -v122
	v_fma_f32 v97, v67, s5, -v97
	v_add_f32_e32 v30, v30, v140
	v_fmac_f32_e32 v141, 0xbe3c28d5, v29
	v_add_f32_e32 v22, v22, v172
	v_fmac_f32_e32 v173, 0x3eb8f4ab, v23
	v_add_f32_e32 v113, v113, v114
	v_fma_f32 v114, v63, s9, -v123
	v_add_f32_e32 v96, v96, v97
	v_fma_f32 v97, v63, s7, -v98
	v_add_f32_e32 v30, v30, v141
	v_fmac_f32_e32 v142, 0x3f7ee86f, v35
	v_add_f32_e32 v22, v22, v173
	v_fmac_f32_e32 v174, 0xbf65296c, v29
	v_add_f32_e32 v113, v113, v114
	v_fma_f32 v114, v64, s6, -v124
	v_add_f32_e32 v96, v96, v97
	v_fma_f32 v97, v64, s9, -v99
	v_add_f32_e32 v30, v30, v142
	v_fmac_f32_e32 v143, 0xbeb8f4ab, v0
	v_add_f32_e32 v22, v22, v174
	v_fmac_f32_e32 v175, 0xbf06c442, v35
	v_mul_f32_e32 v181, 0x3f3d2fb0, v86
	v_add_f32_e32 v113, v113, v114
	v_fma_f32 v114, v77, s1, -v125
	v_add_f32_e32 v96, v96, v97
	v_fma_f32 v97, v77, s8, -v100
	v_add_f32_e32 v30, v30, v143
	v_fmac_f32_e32 v168, 0xbf4c4adb, v37
	v_add_f32_e32 v22, v22, v175
	v_fmac_f32_e32 v176, 0x3f4c4adb, v0
	v_mov_b32_e32 v112, v181
	v_add_f32_e32 v113, v113, v114
	v_fma_f32 v114, v81, s0, -v126
	v_add_f32_e32 v96, v96, v97
	v_fma_f32 v97, v81, s6, -v101
	v_fma_f32 v67, v67, s1, -v71
	v_add_f32_e32 v31, v30, v168
	v_fma_f32 v30, v38, s6, -v144
	v_add_f32_e32 v0, v22, v176
	v_fmac_f32_e32 v181, 0x3f2c7751, v37
	v_add_f32_e32 v113, v113, v114
	v_fma_f32 v114, v84, s5, -v127
	v_fmac_f32_e32 v128, 0x3ee437d1, v38
	v_add_f32_e32 v96, v96, v97
	v_fma_f32 v97, v84, s4, -v102
	;; [unrolled: 3-line block ×4, first 2 shown]
	v_add_f32_e32 v22, v0, v181
	v_fma_f32 v0, v38, s5, -v177
	v_add_f32_e32 v113, v113, v114
	v_add_f32_e32 v114, v21, v128
	;; [unrolled: 1-line block ×7, first 2 shown]
	v_fma_f32 v32, v41, s1, -v146
	v_add_f32_e32 v0, v21, v0
	v_fma_f32 v21, v40, s9, -v178
	v_add_f32_e32 v30, v30, v32
	;; [unrolled: 2-line block ×5, first 2 shown]
	v_fma_f32 v21, v43, s0, -v180
	v_fma_f32 v64, v64, s5, -v69
	v_add_f32_e32 v30, v30, v32
	v_fma_f32 v32, v42, s5, -v163
	v_add_f32_e32 v0, v0, v21
	v_fma_f32 v21, v46, s4, -v116
	v_mad_u64_u32 v[23:24], s[4:5], s2, v51, 0
	v_add_f32_e32 v0, v0, v21
	v_fma_f32 v21, v42, s8, -v117
	v_add_f32_e32 v21, v0, v21
	v_fma_f32 v26, v45, s7, -v118
	v_mov_b32_e32 v0, v24
	v_mad_u64_u32 v[24:25], s[4:5], s3, v51, v[0:1]
	v_add_f32_e32 v0, v21, v26
	v_fma_f32 v21, v47, s1, -v115
	v_add_f32_e32 v21, v0, v21
	v_mov_b32_e32 v0, s11
	v_addc_co_u32_e32 v6, vcc, v0, v6, vcc
	v_lshlrev_b64 v[0:1], 3, v[1:2]
	v_fma_f32 v95, v86, s0, -v95
	v_add_co_u32_e32 v26, vcc, v5, v0
	v_addc_co_u32_e32 v29, vcc, v6, v1, vcc
	v_lshlrev_b64 v[0:1], 3, v[23:24]
	v_add_u32_e32 v23, 0x77, v51
	v_add_f32_e32 v30, v30, v32
	v_fma_f32 v32, v45, s0, -v166
	v_mad_u64_u32 v[5:6], s[0:1], s2, v23, 0
	v_add_f32_e32 v30, v30, v32
	v_fma_f32 v32, v47, s7, -v169
	v_mov_b32_e32 v2, v6
	v_add_f32_e32 v30, v30, v32
	v_mad_u64_u32 v[23:24], s[0:1], s3, v23, v[2:3]
	v_add_u32_e32 v32, 0xee, v51
	v_mad_u64_u32 v[24:25], s[0:1], s2, v32, 0
	v_add_co_u32_e32 v0, vcc, v26, v0
	v_addc_co_u32_e32 v1, vcc, v29, v1, vcc
	v_mov_b32_e32 v6, v23
	v_mov_b32_e32 v2, v25
	global_store_dwordx2 v[0:1], v[48:49], off
	v_lshlrev_b64 v[0:1], 3, v[5:6]
	v_mad_u64_u32 v[5:6], s[0:1], s3, v32, v[2:3]
	v_fmac_f32_e32 v88, 0x3f3d2fb0, v40
	v_add_f32_e32 v66, v66, v88
	v_fmac_f32_e32 v89, 0x3ee437d1, v41
	v_add_f32_e32 v66, v66, v89
	v_fmac_f32_e32 v90, 0x3dbcf732, v43
	v_add_u32_e32 v23, 0x165, v51
	v_add_f32_e32 v63, v63, v64
	v_fma_f32 v64, v77, s6, -v75
	v_add_f32_e32 v66, v66, v90
	v_fmac_f32_e32 v91, 0xbe8c1d8e, v46
	v_mov_b32_e32 v25, v5
	v_mad_u64_u32 v[5:6], s[0:1], s2, v23, 0
	v_add_f32_e32 v63, v63, v64
	v_fma_f32 v64, v81, s7, -v79
	v_add_f32_e32 v66, v66, v91
	v_fmac_f32_e32 v92, 0xbf1a4643, v42
	v_add_f32_e32 v63, v63, v64
	v_fma_f32 v64, v84, s8, -v83
	v_add_f32_e32 v66, v66, v92
	v_fmac_f32_e32 v93, 0xbf59a7d5, v45
	v_fmac_f32_e32 v105, 0x3dbcf732, v40
	v_add_f32_e32 v63, v63, v64
	v_fma_f32 v64, v86, s9, -v85
	v_add_f32_e32 v66, v66, v93
	v_fmac_f32_e32 v94, 0xbf7ba420, v47
	v_add_co_u32_e32 v0, vcc, v26, v0
	v_add_f32_e32 v97, v97, v105
	v_fmac_f32_e32 v106, 0xbf1a4643, v41
	v_add_f32_e32 v64, v63, v64
	v_add_f32_e32 v63, v66, v94
	v_addc_co_u32_e32 v1, vcc, v29, v1, vcc
	v_mov_b32_e32 v2, v6
	v_add_f32_e32 v97, v97, v106
	v_fmac_f32_e32 v107, 0xbf7ba420, v43
	global_store_dwordx2 v[0:1], v[63:64], off
	v_lshlrev_b64 v[0:1], 3, v[24:25]
	v_mad_u64_u32 v[23:24], s[0:1], s3, v23, v[2:3]
	v_add_u32_e32 v32, 0x1dc, v51
	v_add_f32_e32 v97, v97, v107
	v_fmac_f32_e32 v108, 0xbf59a7d5, v46
	v_mad_u64_u32 v[24:25], s[0:1], s2, v32, 0
	v_add_f32_e32 v97, v97, v108
	v_fmac_f32_e32 v109, 0xbe8c1d8e, v42
	v_add_f32_e32 v97, v97, v109
	v_fmac_f32_e32 v110, 0x3ee437d1, v45
	;; [unrolled: 2-line block ×3, first 2 shown]
	v_add_co_u32_e32 v0, vcc, v26, v0
	v_add_f32_e32 v96, v96, v95
	v_add_f32_e32 v95, v97, v103
	v_addc_co_u32_e32 v1, vcc, v29, v1, vcc
	v_mov_b32_e32 v6, v23
	v_mov_b32_e32 v2, v25
	global_store_dwordx2 v[0:1], v[95:96], off
	v_lshlrev_b64 v[0:1], 3, v[5:6]
	v_mad_u64_u32 v[5:6], s[0:1], s3, v32, v[2:3]
	v_fmac_f32_e32 v129, 0xbf1a4643, v40
	v_add_f32_e32 v114, v114, v129
	v_fmac_f32_e32 v130, 0xbf7ba420, v41
	v_add_f32_e32 v114, v114, v130
	v_fmac_f32_e32 v131, 0xbe8c1d8e, v43
	v_add_u32_e32 v23, 0x253, v51
	v_add_f32_e32 v114, v114, v131
	v_fmac_f32_e32 v132, 0x3f3d2fb0, v46
	v_mov_b32_e32 v25, v5
	v_mad_u64_u32 v[5:6], s[0:1], s2, v23, 0
	v_add_f32_e32 v114, v114, v132
	v_fmac_f32_e32 v133, 0x3f6eb680, v42
	v_add_f32_e32 v114, v114, v133
	v_fmac_f32_e32 v134, 0x3dbcf732, v45
	v_add_f32_e32 v121, v114, v134
	v_fma_f32 v114, v86, s8, -v135
	v_fmac_f32_e32 v136, 0xbf59a7d5, v47
	v_add_co_u32_e32 v0, vcc, v26, v0
	v_add_f32_e32 v114, v113, v114
	v_add_f32_e32 v113, v121, v136
	v_addc_co_u32_e32 v1, vcc, v29, v1, vcc
	v_mov_b32_e32 v2, v6
	global_store_dwordx2 v[0:1], v[113:114], off
	v_lshlrev_b64 v[0:1], 3, v[24:25]
	v_mad_u64_u32 v[23:24], s[0:1], s3, v23, v[2:3]
	v_add_u32_e32 v32, 0x2ca, v51
	v_mad_u64_u32 v[24:25], s[0:1], s2, v32, 0
	v_fmac_f32_e32 v112, 0xbf2c7751, v37
	v_add_co_u32_e32 v0, vcc, v26, v0
	v_add_f32_e32 v112, v170, v112
	v_addc_co_u32_e32 v1, vcc, v29, v1, vcc
	v_mov_b32_e32 v6, v23
	v_mov_b32_e32 v2, v25
	global_store_dwordx2 v[0:1], v[111:112], off
	v_lshlrev_b64 v[0:1], 3, v[5:6]
	v_mad_u64_u32 v[5:6], s[0:1], s3, v32, v[2:3]
	v_add_u32_e32 v23, 0x341, v51
	v_add_co_u32_e32 v0, vcc, v26, v0
	v_mov_b32_e32 v25, v5
	v_mad_u64_u32 v[5:6], s[0:1], s2, v23, 0
	v_addc_co_u32_e32 v1, vcc, v29, v1, vcc
	v_mov_b32_e32 v2, v6
	global_store_dwordx2 v[0:1], v[119:120], off
	v_lshlrev_b64 v[0:1], 3, v[24:25]
	v_mad_u64_u32 v[23:24], s[0:1], s3, v23, v[2:3]
	v_add_u32_e32 v32, 0x3b8, v51
	v_mad_u64_u32 v[24:25], s[0:1], s2, v32, 0
	v_add_co_u32_e32 v0, vcc, v26, v0
	v_addc_co_u32_e32 v1, vcc, v29, v1, vcc
	v_mov_b32_e32 v6, v23
	global_store_dwordx2 v[0:1], v[19:20], off
	v_lshlrev_b64 v[0:1], 3, v[5:6]
	v_mov_b32_e32 v2, v25
	v_mad_u64_u32 v[5:6], s[0:1], s3, v32, v[2:3]
	v_add_co_u32_e32 v0, vcc, v26, v0
	v_addc_co_u32_e32 v1, vcc, v29, v1, vcc
	global_store_dwordx2 v[0:1], v[17:18], off
	v_add_u32_e32 v17, 0x42f, v51
	v_mov_b32_e32 v25, v5
	v_mad_u64_u32 v[5:6], s[0:1], s2, v17, 0
	v_add_u32_e32 v20, 0x4a6, v51
	v_lshlrev_b64 v[0:1], 3, v[24:25]
	v_mov_b32_e32 v2, v6
	v_mad_u64_u32 v[17:18], s[0:1], s3, v17, v[2:3]
	v_mad_u64_u32 v[18:19], s[0:1], s2, v20, 0
	v_add_co_u32_e32 v0, vcc, v26, v0
	v_addc_co_u32_e32 v1, vcc, v29, v1, vcc
	v_mov_b32_e32 v6, v17
	global_store_dwordx2 v[0:1], v[15:16], off
	v_lshlrev_b64 v[0:1], 3, v[5:6]
	v_mov_b32_e32 v2, v19
	v_mad_u64_u32 v[5:6], s[0:1], s3, v20, v[2:3]
	v_add_co_u32_e32 v0, vcc, v26, v0
	v_addc_co_u32_e32 v1, vcc, v29, v1, vcc
	global_store_dwordx2 v[0:1], v[13:14], off
	v_add_u32_e32 v13, 0x51d, v51
	v_mov_b32_e32 v19, v5
	v_mad_u64_u32 v[5:6], s[0:1], s2, v13, 0
	v_add_u32_e32 v16, 0x594, v51
	v_lshlrev_b64 v[0:1], 3, v[18:19]
	v_mov_b32_e32 v2, v6
	v_mad_u64_u32 v[13:14], s[0:1], s3, v13, v[2:3]
	v_mad_u64_u32 v[14:15], s[0:1], s2, v16, 0
	v_add_co_u32_e32 v0, vcc, v26, v0
	v_addc_co_u32_e32 v1, vcc, v29, v1, vcc
	v_mov_b32_e32 v6, v13
	global_store_dwordx2 v[0:1], v[27:28], off
	v_lshlrev_b64 v[0:1], 3, v[5:6]
	v_mov_b32_e32 v2, v15
	v_mad_u64_u32 v[5:6], s[0:1], s3, v16, v[2:3]
	v_add_co_u32_e32 v0, vcc, v26, v0
	v_addc_co_u32_e32 v1, vcc, v29, v1, vcc
	global_store_dwordx2 v[0:1], v[11:12], off
	v_add_u32_e32 v11, 0x60b, v51
	v_mov_b32_e32 v15, v5
	v_mad_u64_u32 v[5:6], s[0:1], s2, v11, 0
	v_lshlrev_b64 v[0:1], 3, v[14:15]
	v_add_u32_e32 v14, 0x682, v51
	v_mov_b32_e32 v2, v6
	v_mad_u64_u32 v[11:12], s[0:1], s3, v11, v[2:3]
	v_mad_u64_u32 v[12:13], s[0:1], s2, v14, 0
	v_add_co_u32_e32 v0, vcc, v26, v0
	v_addc_co_u32_e32 v1, vcc, v29, v1, vcc
	v_mov_b32_e32 v6, v11
	v_mov_b32_e32 v2, v13
	global_store_dwordx2 v[0:1], v[30:31], off
	v_lshlrev_b64 v[0:1], 3, v[5:6]
	v_mad_u64_u32 v[5:6], s[0:1], s3, v14, v[2:3]
	v_add_u32_e32 v11, 0x6f9, v51
	v_add_co_u32_e32 v0, vcc, v26, v0
	v_mov_b32_e32 v13, v5
	v_mad_u64_u32 v[5:6], s[0:1], s2, v11, 0
	v_addc_co_u32_e32 v1, vcc, v29, v1, vcc
	v_mov_b32_e32 v2, v6
	global_store_dwordx2 v[0:1], v[21:22], off
	v_lshlrev_b64 v[0:1], 3, v[12:13]
	v_mad_u64_u32 v[11:12], s[0:1], s3, v11, v[2:3]
	v_add_u32_e32 v14, 0x770, v51
	v_mad_u64_u32 v[12:13], s[0:1], s2, v14, 0
	v_add_co_u32_e32 v0, vcc, v26, v0
	v_addc_co_u32_e32 v1, vcc, v29, v1, vcc
	v_mov_b32_e32 v6, v11
	v_mov_b32_e32 v2, v13
	global_store_dwordx2 v[0:1], v[9:10], off
	v_lshlrev_b64 v[0:1], 3, v[5:6]
	v_mad_u64_u32 v[5:6], s[0:1], s3, v14, v[2:3]
	v_add_co_u32_e32 v0, vcc, v26, v0
	v_addc_co_u32_e32 v1, vcc, v29, v1, vcc
	v_mov_b32_e32 v13, v5
	global_store_dwordx2 v[0:1], v[7:8], off
	v_lshlrev_b64 v[0:1], 3, v[12:13]
	v_add_co_u32_e32 v0, vcc, v26, v0
	v_addc_co_u32_e32 v1, vcc, v29, v1, vcc
	global_store_dwordx2 v[0:1], v[3:4], off
.LBB0_23:
	s_endpgm
	.section	.rodata,"a",@progbits
	.p2align	6, 0x0
	.amdhsa_kernel fft_rtc_back_len2023_factors_17_7_17_wgs_119_tpt_119_halfLds_sp_op_CI_CI_sbrr_dirReg
		.amdhsa_group_segment_fixed_size 0
		.amdhsa_private_segment_fixed_size 0
		.amdhsa_kernarg_size 104
		.amdhsa_user_sgpr_count 6
		.amdhsa_user_sgpr_private_segment_buffer 1
		.amdhsa_user_sgpr_dispatch_ptr 0
		.amdhsa_user_sgpr_queue_ptr 0
		.amdhsa_user_sgpr_kernarg_segment_ptr 1
		.amdhsa_user_sgpr_dispatch_id 0
		.amdhsa_user_sgpr_flat_scratch_init 0
		.amdhsa_user_sgpr_private_segment_size 0
		.amdhsa_uses_dynamic_stack 0
		.amdhsa_system_sgpr_private_segment_wavefront_offset 0
		.amdhsa_system_sgpr_workgroup_id_x 1
		.amdhsa_system_sgpr_workgroup_id_y 0
		.amdhsa_system_sgpr_workgroup_id_z 0
		.amdhsa_system_sgpr_workgroup_info 0
		.amdhsa_system_vgpr_workitem_id 0
		.amdhsa_next_free_vgpr 182
		.amdhsa_next_free_sgpr 32
		.amdhsa_reserve_vcc 1
		.amdhsa_reserve_flat_scratch 0
		.amdhsa_float_round_mode_32 0
		.amdhsa_float_round_mode_16_64 0
		.amdhsa_float_denorm_mode_32 3
		.amdhsa_float_denorm_mode_16_64 3
		.amdhsa_dx10_clamp 1
		.amdhsa_ieee_mode 1
		.amdhsa_fp16_overflow 0
		.amdhsa_exception_fp_ieee_invalid_op 0
		.amdhsa_exception_fp_denorm_src 0
		.amdhsa_exception_fp_ieee_div_zero 0
		.amdhsa_exception_fp_ieee_overflow 0
		.amdhsa_exception_fp_ieee_underflow 0
		.amdhsa_exception_fp_ieee_inexact 0
		.amdhsa_exception_int_div_zero 0
	.end_amdhsa_kernel
	.text
.Lfunc_end0:
	.size	fft_rtc_back_len2023_factors_17_7_17_wgs_119_tpt_119_halfLds_sp_op_CI_CI_sbrr_dirReg, .Lfunc_end0-fft_rtc_back_len2023_factors_17_7_17_wgs_119_tpt_119_halfLds_sp_op_CI_CI_sbrr_dirReg
                                        ; -- End function
	.section	.AMDGPU.csdata,"",@progbits
; Kernel info:
; codeLenInByte = 16424
; NumSgprs: 36
; NumVgprs: 182
; ScratchSize: 0
; MemoryBound: 0
; FloatMode: 240
; IeeeMode: 1
; LDSByteSize: 0 bytes/workgroup (compile time only)
; SGPRBlocks: 4
; VGPRBlocks: 45
; NumSGPRsForWavesPerEU: 36
; NumVGPRsForWavesPerEU: 182
; Occupancy: 1
; WaveLimiterHint : 1
; COMPUTE_PGM_RSRC2:SCRATCH_EN: 0
; COMPUTE_PGM_RSRC2:USER_SGPR: 6
; COMPUTE_PGM_RSRC2:TRAP_HANDLER: 0
; COMPUTE_PGM_RSRC2:TGID_X_EN: 1
; COMPUTE_PGM_RSRC2:TGID_Y_EN: 0
; COMPUTE_PGM_RSRC2:TGID_Z_EN: 0
; COMPUTE_PGM_RSRC2:TIDIG_COMP_CNT: 0
	.type	__hip_cuid_dfea31f2c69e799d,@object ; @__hip_cuid_dfea31f2c69e799d
	.section	.bss,"aw",@nobits
	.globl	__hip_cuid_dfea31f2c69e799d
__hip_cuid_dfea31f2c69e799d:
	.byte	0                               ; 0x0
	.size	__hip_cuid_dfea31f2c69e799d, 1

	.ident	"AMD clang version 19.0.0git (https://github.com/RadeonOpenCompute/llvm-project roc-6.4.0 25133 c7fe45cf4b819c5991fe208aaa96edf142730f1d)"
	.section	".note.GNU-stack","",@progbits
	.addrsig
	.addrsig_sym __hip_cuid_dfea31f2c69e799d
	.amdgpu_metadata
---
amdhsa.kernels:
  - .args:
      - .actual_access:  read_only
        .address_space:  global
        .offset:         0
        .size:           8
        .value_kind:     global_buffer
      - .offset:         8
        .size:           8
        .value_kind:     by_value
      - .actual_access:  read_only
        .address_space:  global
        .offset:         16
        .size:           8
        .value_kind:     global_buffer
      - .actual_access:  read_only
        .address_space:  global
        .offset:         24
        .size:           8
        .value_kind:     global_buffer
      - .actual_access:  read_only
        .address_space:  global
        .offset:         32
        .size:           8
        .value_kind:     global_buffer
      - .offset:         40
        .size:           8
        .value_kind:     by_value
      - .actual_access:  read_only
        .address_space:  global
        .offset:         48
        .size:           8
        .value_kind:     global_buffer
      - .actual_access:  read_only
        .address_space:  global
        .offset:         56
        .size:           8
        .value_kind:     global_buffer
      - .offset:         64
        .size:           4
        .value_kind:     by_value
      - .actual_access:  read_only
        .address_space:  global
        .offset:         72
        .size:           8
        .value_kind:     global_buffer
      - .actual_access:  read_only
        .address_space:  global
        .offset:         80
        .size:           8
        .value_kind:     global_buffer
      - .actual_access:  read_only
        .address_space:  global
        .offset:         88
        .size:           8
        .value_kind:     global_buffer
      - .actual_access:  write_only
        .address_space:  global
        .offset:         96
        .size:           8
        .value_kind:     global_buffer
    .group_segment_fixed_size: 0
    .kernarg_segment_align: 8
    .kernarg_segment_size: 104
    .language:       OpenCL C
    .language_version:
      - 2
      - 0
    .max_flat_workgroup_size: 119
    .name:           fft_rtc_back_len2023_factors_17_7_17_wgs_119_tpt_119_halfLds_sp_op_CI_CI_sbrr_dirReg
    .private_segment_fixed_size: 0
    .sgpr_count:     36
    .sgpr_spill_count: 0
    .symbol:         fft_rtc_back_len2023_factors_17_7_17_wgs_119_tpt_119_halfLds_sp_op_CI_CI_sbrr_dirReg.kd
    .uniform_work_group_size: 1
    .uses_dynamic_stack: false
    .vgpr_count:     182
    .vgpr_spill_count: 0
    .wavefront_size: 64
amdhsa.target:   amdgcn-amd-amdhsa--gfx906
amdhsa.version:
  - 1
  - 2
...

	.end_amdgpu_metadata
